;; amdgpu-corpus repo=ROCm/rocFFT kind=compiled arch=gfx950 opt=O3
	.text
	.amdgcn_target "amdgcn-amd-amdhsa--gfx950"
	.amdhsa_code_object_version 6
	.protected	fft_rtc_back_len125_factors_5_5_5_wgs_160_tpt_5_dim3_sp_ip_CI_sbcc_twdbase8_2step_dirReg_intrinsicReadWrite ; -- Begin function fft_rtc_back_len125_factors_5_5_5_wgs_160_tpt_5_dim3_sp_ip_CI_sbcc_twdbase8_2step_dirReg_intrinsicReadWrite
	.globl	fft_rtc_back_len125_factors_5_5_5_wgs_160_tpt_5_dim3_sp_ip_CI_sbcc_twdbase8_2step_dirReg_intrinsicReadWrite
	.p2align	8
	.type	fft_rtc_back_len125_factors_5_5_5_wgs_160_tpt_5_dim3_sp_ip_CI_sbcc_twdbase8_2step_dirReg_intrinsicReadWrite,@function
fft_rtc_back_len125_factors_5_5_5_wgs_160_tpt_5_dim3_sp_ip_CI_sbcc_twdbase8_2step_dirReg_intrinsicReadWrite: ; @fft_rtc_back_len125_factors_5_5_5_wgs_160_tpt_5_dim3_sp_ip_CI_sbcc_twdbase8_2step_dirReg_intrinsicReadWrite
; %bb.0:
	s_load_dwordx4 s[4:7], s[0:1], 0x10
	s_mov_b32 s3, 0
	s_mov_b64 s[16:17], 0
	s_waitcnt lgkmcnt(0)
	s_load_dwordx2 s[10:11], s[4:5], 0x8
	s_waitcnt lgkmcnt(0)
	s_add_u32 s8, s10, -1
	s_addc_u32 s9, s11, -1
	s_lshr_b64 s[8:9], s[8:9], 5
	s_add_u32 s14, s8, 1
	s_addc_u32 s15, s9, 0
	v_mov_b64_e32 v[2:3], s[14:15]
	v_cmp_lt_u64_e32 vcc, s[2:3], v[2:3]
	s_cbranch_vccnz .LBB0_2
; %bb.1:
	v_cvt_f32_u32_e32 v1, s14
	s_sub_i32 s8, 0, s14
	s_mov_b32 s17, s3
	v_rcp_iflag_f32_e32 v1, v1
	s_nop 0
	v_mul_f32_e32 v1, 0x4f7ffffe, v1
	v_cvt_u32_f32_e32 v1, v1
	s_nop 0
	v_readfirstlane_b32 s9, v1
	s_mul_i32 s8, s8, s9
	s_mul_hi_u32 s8, s9, s8
	s_add_i32 s9, s9, s8
	s_mul_hi_u32 s8, s2, s9
	s_mul_i32 s12, s8, s14
	s_sub_i32 s12, s2, s12
	s_add_i32 s9, s8, 1
	s_sub_i32 s13, s12, s14
	s_cmp_ge_u32 s12, s14
	s_cselect_b32 s8, s9, s8
	s_cselect_b32 s12, s13, s12
	s_add_i32 s9, s8, 1
	s_cmp_ge_u32 s12, s14
	s_cselect_b32 s16, s9, s8
.LBB0_2:
	s_load_dwordx2 s[8:9], s[4:5], 0x10
	s_load_dwordx2 s[12:13], s[6:7], 0x8
	s_mov_b64 s[18:19], s[16:17]
	s_waitcnt lgkmcnt(0)
	v_mov_b64_e32 v[2:3], s[8:9]
	v_cmp_lt_u64_e32 vcc, s[16:17], v[2:3]
	s_cbranch_vccnz .LBB0_4
; %bb.3:
	v_cvt_f32_u32_e32 v1, s8
	s_sub_i32 s4, 0, s8
	v_rcp_iflag_f32_e32 v1, v1
	s_nop 0
	v_mul_f32_e32 v1, 0x4f7ffffe, v1
	v_cvt_u32_f32_e32 v1, v1
	s_nop 0
	v_readfirstlane_b32 s5, v1
	s_mul_i32 s4, s4, s5
	s_mul_hi_u32 s4, s5, s4
	s_add_i32 s5, s5, s4
	s_mul_hi_u32 s4, s16, s5
	s_mul_i32 s4, s4, s8
	s_sub_i32 s4, s16, s4
	s_sub_i32 s5, s4, s8
	s_cmp_ge_u32 s4, s8
	s_cselect_b32 s4, s5, s4
	s_sub_i32 s5, s4, s8
	s_cmp_ge_u32 s4, s8
	s_cselect_b32 s18, s5, s4
.LBB0_4:
	s_mul_i32 s17, s8, s15
	s_mul_hi_u32 s19, s8, s14
	s_add_i32 s17, s19, s17
	s_mul_i32 s9, s9, s14
	s_load_dwordx2 s[4:5], s[0:1], 0x50
	s_add_i32 s25, s17, s9
	s_mul_i32 s24, s8, s14
	s_load_dwordx2 s[8:9], s[6:7], 0x0
	s_load_dwordx2 s[20:21], s[6:7], 0x10
	v_mov_b64_e32 v[2:3], s[24:25]
	v_cmp_lt_u64_e32 vcc, s[2:3], v[2:3]
	s_mov_b64 s[22:23], 0
	s_cbranch_vccnz .LBB0_6
; %bb.5:
	v_cvt_f32_u32_e32 v1, s24
	s_sub_i32 s3, 0, s24
	v_rcp_iflag_f32_e32 v1, v1
	s_nop 0
	v_mul_f32_e32 v1, 0x4f7ffffe, v1
	v_cvt_u32_f32_e32 v1, v1
	s_waitcnt lgkmcnt(0)
	v_readfirstlane_b32 s9, v1
	s_mul_i32 s3, s3, s9
	s_mul_hi_u32 s3, s9, s3
	s_add_i32 s9, s9, s3
	s_mul_hi_u32 s3, s2, s9
	s_mul_i32 s17, s3, s24
	s_sub_i32 s17, s2, s17
	s_add_i32 s9, s3, 1
	s_sub_i32 s19, s17, s24
	s_cmp_ge_u32 s17, s24
	s_cselect_b32 s3, s9, s3
	s_cselect_b32 s17, s19, s17
	s_add_i32 s9, s3, 1
	s_cmp_ge_u32 s17, s24
	s_cselect_b32 s22, s9, s3
.LBB0_6:
	s_mul_i32 s3, s16, s15
	s_waitcnt lgkmcnt(0)
	s_mul_hi_u32 s9, s16, s14
	s_add_i32 s9, s9, s3
	s_mul_i32 s3, s16, s14
	s_sub_u32 s2, s2, s3
	s_subb_u32 s3, 0, s9
	v_mov_b32_e32 v1, s2
	s_lshl_b64 s[14:15], s[2:3], 5
	v_alignbit_b32 v1, s3, v1, 27
	v_mul_lo_u32 v1, s12, v1
	s_mul_hi_u32 s2, s12, s14
	v_add_u32_e32 v1, s2, v1
	s_mul_i32 s2, s13, s14
	v_add_u32_e32 v3, s2, v1
	s_mul_i32 s2, s12, s14
	v_mov_b32_e32 v2, s2
	s_load_dwordx2 s[2:3], s[6:7], 0x18
	s_mul_i32 s9, s21, s18
	s_mul_hi_u32 s6, s20, s18
	s_add_i32 s7, s6, s9
	s_mul_i32 s6, s20, s18
	v_lshl_add_u64 v[2:3], s[6:7], 0, v[2:3]
	s_waitcnt lgkmcnt(0)
	s_mul_i32 s3, s3, s22
	s_mul_hi_u32 s6, s2, s22
	s_add_i32 s3, s6, s3
	s_mul_i32 s2, s2, s22
	v_lshl_add_u64 v[26:27], s[2:3], 0, v[2:3]
	s_add_u32 s2, s14, 32
	v_and_b32_e32 v58, 31, v0
	s_addc_u32 s3, s15, 0
	v_mov_b64_e32 v[2:3], s[10:11]
	v_or_b32_e32 v30, s14, v58
	v_mov_b32_e32 v31, s15
	v_cmp_le_u64_e32 vcc, s[2:3], v[2:3]
	v_mad_u64_u32 v[28:29], s[2:3], s12, v58, 0
	v_cmp_gt_u64_e64 s[2:3], s[10:11], v[30:31]
	v_lshrrev_b32_e32 v27, 5, v0
	s_or_b64 s[14:15], vcc, s[2:3]
	v_mov_b32_e32 v2, 0
	v_mov_b32_e32 v4, 0
	;; [unrolled: 1-line block ×3, first 2 shown]
	s_and_saveexec_b64 s[2:3], s[14:15]
	s_cbranch_execz .LBB0_8
; %bb.7:
	v_mul_lo_u32 v1, s8, v27
	v_add3_u32 v4, v26, v28, v1
	v_mov_b32_e32 v5, 0
	v_lshl_add_u64 v[4:5], v[4:5], 3, s[4:5]
	global_load_dwordx2 v[4:5], v[4:5], off
.LBB0_8:
	s_or_b64 exec, exec, s[2:3]
	v_mov_b32_e32 v3, 0
	s_and_saveexec_b64 s[2:3], s[14:15]
	s_cbranch_execz .LBB0_10
; %bb.9:
	v_add_u32_e32 v1, 25, v27
	v_mul_lo_u32 v1, s8, v1
	v_add3_u32 v2, v26, v28, v1
	v_mov_b32_e32 v3, 0
	v_lshl_add_u64 v[2:3], v[2:3], 3, s[4:5]
	global_load_dwordx2 v[2:3], v[2:3], off
.LBB0_10:
	s_or_b64 exec, exec, s[2:3]
	v_mov_b32_e32 v8, 0
	v_mov_b32_e32 v10, 0
	;; [unrolled: 1-line block ×3, first 2 shown]
	s_and_saveexec_b64 s[2:3], s[14:15]
	s_cbranch_execz .LBB0_12
; %bb.11:
	v_add_u32_e32 v1, 50, v27
	v_mul_lo_u32 v1, s8, v1
	v_add3_u32 v6, v26, v28, v1
	v_mov_b32_e32 v7, 0
	v_lshl_add_u64 v[6:7], v[6:7], 3, s[4:5]
	global_load_dwordx2 v[10:11], v[6:7], off
.LBB0_12:
	s_or_b64 exec, exec, s[2:3]
	v_mov_b32_e32 v9, 0
	s_and_saveexec_b64 s[2:3], s[14:15]
	s_cbranch_execz .LBB0_14
; %bb.13:
	v_add_u32_e32 v1, 0x4b, v27
	v_mul_lo_u32 v1, s8, v1
	v_add3_u32 v6, v26, v28, v1
	v_mov_b32_e32 v7, 0
	v_lshl_add_u64 v[6:7], v[6:7], 3, s[4:5]
	global_load_dwordx2 v[8:9], v[6:7], off
.LBB0_14:
	s_or_b64 exec, exec, s[2:3]
	v_mov_b32_e32 v6, 0
	v_mov_b32_e32 v16, 0
	;; [unrolled: 1-line block ×3, first 2 shown]
	s_and_saveexec_b64 s[2:3], s[14:15]
	s_cbranch_execz .LBB0_16
; %bb.15:
	v_add_u32_e32 v1, 0x64, v27
	v_mul_lo_u32 v1, s8, v1
	v_add3_u32 v12, v26, v28, v1
	v_mov_b32_e32 v13, 0
	v_lshl_add_u64 v[12:13], v[12:13], 3, s[4:5]
	global_load_dwordx2 v[16:17], v[12:13], off
.LBB0_16:
	s_or_b64 exec, exec, s[2:3]
	v_add_u32_e32 v1, 5, v27
	v_mov_b32_e32 v7, 0
	s_and_saveexec_b64 s[2:3], s[14:15]
	s_cbranch_execz .LBB0_18
; %bb.17:
	v_mul_lo_u32 v6, s8, v1
	v_add3_u32 v6, v26, v28, v6
	v_mov_b32_e32 v7, 0
	v_lshl_add_u64 v[6:7], v[6:7], 3, s[4:5]
	global_load_dwordx2 v[6:7], v[6:7], off
.LBB0_18:
	s_or_b64 exec, exec, s[2:3]
	v_mov_b32_e32 v12, 0
	v_mov_b32_e32 v14, 0
	;; [unrolled: 1-line block ×3, first 2 shown]
	s_and_saveexec_b64 s[2:3], s[14:15]
	s_cbranch_execz .LBB0_20
; %bb.19:
	v_add_u32_e32 v13, 30, v27
	v_mul_lo_u32 v13, s8, v13
	v_add3_u32 v14, v26, v28, v13
	v_mov_b32_e32 v15, 0
	v_lshl_add_u64 v[14:15], v[14:15], 3, s[4:5]
	global_load_dwordx2 v[14:15], v[14:15], off
.LBB0_20:
	s_or_b64 exec, exec, s[2:3]
	v_mov_b32_e32 v13, 0
	s_and_saveexec_b64 s[2:3], s[14:15]
	s_cbranch_execz .LBB0_22
; %bb.21:
	v_add_u32_e32 v12, 55, v27
	v_mul_lo_u32 v12, s8, v12
	v_add3_u32 v12, v26, v28, v12
	v_mov_b32_e32 v13, 0
	v_lshl_add_u64 v[12:13], v[12:13], 3, s[4:5]
	global_load_dwordx2 v[12:13], v[12:13], off
.LBB0_22:
	s_or_b64 exec, exec, s[2:3]
	v_mov_b32_e32 v18, 0
	v_mov_b32_e32 v20, 0
	;; [unrolled: 1-line block ×3, first 2 shown]
	s_and_saveexec_b64 s[2:3], s[14:15]
	s_cbranch_execz .LBB0_24
; %bb.23:
	v_add_u32_e32 v19, 0x50, v27
	v_mul_lo_u32 v19, s8, v19
	v_add3_u32 v20, v26, v28, v19
	v_mov_b32_e32 v21, 0
	v_lshl_add_u64 v[20:21], v[20:21], 3, s[4:5]
	global_load_dwordx2 v[20:21], v[20:21], off
.LBB0_24:
	s_or_b64 exec, exec, s[2:3]
	v_mov_b32_e32 v19, 0
	s_and_saveexec_b64 s[2:3], s[14:15]
	s_cbranch_execz .LBB0_26
; %bb.25:
	v_add_u32_e32 v18, 0x69, v27
	v_mul_lo_u32 v18, s8, v18
	v_add3_u32 v18, v26, v28, v18
	v_mov_b32_e32 v19, 0
	v_lshl_add_u64 v[18:19], v[18:19], 3, s[4:5]
	global_load_dwordx2 v[18:19], v[18:19], off
.LBB0_26:
	s_or_b64 exec, exec, s[2:3]
	v_add_u32_e32 v90, 10, v27
	v_mov_b32_e32 v22, 0
	v_mov_b32_e32 v24, 0
	;; [unrolled: 1-line block ×3, first 2 shown]
	s_and_saveexec_b64 s[2:3], s[14:15]
	s_cbranch_execz .LBB0_28
; %bb.27:
	v_mul_lo_u32 v23, s8, v90
	v_add3_u32 v24, v26, v28, v23
	v_mov_b32_e32 v25, 0
	v_lshl_add_u64 v[24:25], v[24:25], 3, s[4:5]
	global_load_dwordx2 v[24:25], v[24:25], off
.LBB0_28:
	s_or_b64 exec, exec, s[2:3]
	v_mov_b32_e32 v23, 0
	s_and_saveexec_b64 s[2:3], s[14:15]
	s_cbranch_execz .LBB0_30
; %bb.29:
	v_add_u32_e32 v22, 35, v27
	v_mul_lo_u32 v22, s8, v22
	v_add3_u32 v22, v26, v28, v22
	v_mov_b32_e32 v23, 0
	v_lshl_add_u64 v[22:23], v[22:23], 3, s[4:5]
	global_load_dwordx2 v[22:23], v[22:23], off
.LBB0_30:
	s_or_b64 exec, exec, s[2:3]
	v_mov_b32_e32 v32, 0
	v_mov_b32_e32 v34, 0
	;; [unrolled: 1-line block ×3, first 2 shown]
	s_and_saveexec_b64 s[2:3], s[14:15]
	s_cbranch_execz .LBB0_32
; %bb.31:
	v_add_u32_e32 v29, 60, v27
	v_mul_lo_u32 v29, s8, v29
	v_add3_u32 v34, v26, v28, v29
	v_mov_b32_e32 v35, 0
	v_lshl_add_u64 v[34:35], v[34:35], 3, s[4:5]
	global_load_dwordx2 v[34:35], v[34:35], off
.LBB0_32:
	s_or_b64 exec, exec, s[2:3]
	v_mov_b32_e32 v33, 0
	s_and_saveexec_b64 s[2:3], s[14:15]
	s_cbranch_execz .LBB0_34
; %bb.33:
	v_add_u32_e32 v29, 0x55, v27
	v_mul_lo_u32 v29, s8, v29
	v_add3_u32 v32, v26, v28, v29
	v_mov_b32_e32 v33, 0
	v_lshl_add_u64 v[32:33], v[32:33], 3, s[4:5]
	global_load_dwordx2 v[32:33], v[32:33], off
.LBB0_34:
	s_or_b64 exec, exec, s[2:3]
	v_mov_b32_e32 v36, 0
	v_mov_b32_e32 v38, 0
	;; [unrolled: 1-line block ×3, first 2 shown]
	s_and_saveexec_b64 s[2:3], s[14:15]
	s_cbranch_execz .LBB0_36
; %bb.35:
	v_add_u32_e32 v29, 0x6e, v27
	v_mul_lo_u32 v29, s8, v29
	v_add3_u32 v38, v26, v28, v29
	v_mov_b32_e32 v39, 0
	v_lshl_add_u64 v[38:39], v[38:39], 3, s[4:5]
	global_load_dwordx2 v[38:39], v[38:39], off
.LBB0_36:
	s_or_b64 exec, exec, s[2:3]
	v_add_u32_e32 v91, 15, v27
	v_mov_b32_e32 v37, 0
	s_and_saveexec_b64 s[2:3], s[14:15]
	s_cbranch_execz .LBB0_38
; %bb.37:
	v_mul_lo_u32 v29, s8, v91
	v_add3_u32 v36, v26, v28, v29
	v_mov_b32_e32 v37, 0
	v_lshl_add_u64 v[36:37], v[36:37], 3, s[4:5]
	global_load_dwordx2 v[36:37], v[36:37], off
.LBB0_38:
	s_or_b64 exec, exec, s[2:3]
	v_mov_b32_e32 v40, 0
	v_mov_b32_e32 v42, 0
	;; [unrolled: 1-line block ×3, first 2 shown]
	s_and_saveexec_b64 s[2:3], s[14:15]
	s_cbranch_execz .LBB0_40
; %bb.39:
	v_add_u32_e32 v29, 40, v27
	v_mul_lo_u32 v29, s8, v29
	v_add3_u32 v42, v26, v28, v29
	v_mov_b32_e32 v43, 0
	v_lshl_add_u64 v[42:43], v[42:43], 3, s[4:5]
	global_load_dwordx2 v[42:43], v[42:43], off
.LBB0_40:
	s_or_b64 exec, exec, s[2:3]
	v_mov_b32_e32 v41, 0
	s_and_saveexec_b64 s[2:3], s[14:15]
	s_cbranch_execz .LBB0_42
; %bb.41:
	v_add_u32_e32 v29, 0x41, v27
	v_mul_lo_u32 v29, s8, v29
	v_add3_u32 v40, v26, v28, v29
	v_mov_b32_e32 v41, 0
	v_lshl_add_u64 v[40:41], v[40:41], 3, s[4:5]
	global_load_dwordx2 v[40:41], v[40:41], off
.LBB0_42:
	s_or_b64 exec, exec, s[2:3]
	v_mov_b32_e32 v44, 0
	v_mov_b32_e32 v46, 0
	;; [unrolled: 1-line block ×3, first 2 shown]
	s_and_saveexec_b64 s[2:3], s[14:15]
	s_cbranch_execz .LBB0_44
; %bb.43:
	v_add_u32_e32 v29, 0x5a, v27
	v_mul_lo_u32 v29, s8, v29
	v_add3_u32 v46, v26, v28, v29
	v_mov_b32_e32 v47, 0
	v_lshl_add_u64 v[46:47], v[46:47], 3, s[4:5]
	global_load_dwordx2 v[46:47], v[46:47], off
.LBB0_44:
	s_or_b64 exec, exec, s[2:3]
	v_mov_b32_e32 v45, 0
	s_and_saveexec_b64 s[2:3], s[14:15]
	s_cbranch_execz .LBB0_46
; %bb.45:
	v_add_u32_e32 v29, 0x73, v27
	v_mul_lo_u32 v29, s8, v29
	v_add3_u32 v44, v26, v28, v29
	v_mov_b32_e32 v45, 0
	v_lshl_add_u64 v[44:45], v[44:45], 3, s[4:5]
	global_load_dwordx2 v[44:45], v[44:45], off
.LBB0_46:
	s_or_b64 exec, exec, s[2:3]
	v_add_u32_e32 v92, 20, v27
	v_mov_b32_e32 v48, 0
	v_mov_b32_e32 v50, 0
	;; [unrolled: 1-line block ×3, first 2 shown]
	s_and_saveexec_b64 s[2:3], s[14:15]
	s_cbranch_execz .LBB0_48
; %bb.47:
	v_mul_lo_u32 v29, s8, v92
	v_add3_u32 v50, v26, v28, v29
	v_mov_b32_e32 v51, 0
	v_lshl_add_u64 v[50:51], v[50:51], 3, s[4:5]
	global_load_dwordx2 v[50:51], v[50:51], off
.LBB0_48:
	s_or_b64 exec, exec, s[2:3]
	v_mov_b32_e32 v49, 0
	s_and_saveexec_b64 s[2:3], s[14:15]
	s_cbranch_execz .LBB0_50
; %bb.49:
	v_add_u32_e32 v29, 45, v27
	v_mul_lo_u32 v29, s8, v29
	v_add3_u32 v48, v26, v28, v29
	v_mov_b32_e32 v49, 0
	v_lshl_add_u64 v[48:49], v[48:49], 3, s[4:5]
	global_load_dwordx2 v[48:49], v[48:49], off
.LBB0_50:
	s_or_b64 exec, exec, s[2:3]
	v_mov_b32_e32 v52, 0
	v_mov_b32_e32 v54, 0
	;; [unrolled: 1-line block ×3, first 2 shown]
	s_and_saveexec_b64 s[2:3], s[14:15]
	s_cbranch_execz .LBB0_52
; %bb.51:
	v_add_u32_e32 v29, 0x46, v27
	v_mul_lo_u32 v29, s8, v29
	v_add3_u32 v54, v26, v28, v29
	v_mov_b32_e32 v55, 0
	v_lshl_add_u64 v[54:55], v[54:55], 3, s[4:5]
	global_load_dwordx2 v[54:55], v[54:55], off
.LBB0_52:
	s_or_b64 exec, exec, s[2:3]
	s_load_dwordx2 s[12:13], s[0:1], 0x0
	v_mov_b32_e32 v53, 0
	s_and_saveexec_b64 s[2:3], s[14:15]
	s_cbranch_execz .LBB0_54
; %bb.53:
	v_add_u32_e32 v29, 0x5f, v27
	v_mul_lo_u32 v29, s8, v29
	v_add3_u32 v52, v26, v28, v29
	v_mov_b32_e32 v53, 0
	v_lshl_add_u64 v[52:53], v[52:53], 3, s[4:5]
	global_load_dwordx2 v[52:53], v[52:53], off
.LBB0_54:
	s_or_b64 exec, exec, s[2:3]
	v_mov_b32_e32 v56, 0
	v_mov_b32_e32 v57, 0
	s_and_saveexec_b64 s[2:3], s[14:15]
	s_cbranch_execz .LBB0_56
; %bb.55:
	v_add_u32_e32 v29, 0x78, v27
	v_mul_lo_u32 v29, s8, v29
	v_add3_u32 v56, v26, v28, v29
	v_mov_b32_e32 v57, 0
	v_lshl_add_u64 v[56:57], v[56:57], 3, s[4:5]
	global_load_dwordx2 v[56:57], v[56:57], off
.LBB0_56:
	s_or_b64 exec, exec, s[2:3]
	s_waitcnt vmcnt(0)
	v_pk_add_f32 v[60:61], v[2:3], v[10:11] neg_lo:[0,1] neg_hi:[0,1]
	v_pk_add_f32 v[62:63], v[16:17], v[8:9] neg_lo:[0,1] neg_hi:[0,1]
	s_mov_b32 s2, 0x3f737871
	v_pk_add_f32 v[60:61], v[60:61], v[62:63]
	v_pk_add_f32 v[62:63], v[10:11], v[8:9]
	v_pk_add_f32 v[64:65], v[2:3], v[16:17] neg_lo:[0,1] neg_hi:[0,1]
	v_pk_fma_f32 v[62:63], v[62:63], 0.5, v[4:5] op_sel_hi:[1,0,1] neg_lo:[1,0,0] neg_hi:[1,0,0]
	v_pk_mul_f32 v[66:67], v[64:65], s[2:3] op_sel_hi:[1,0]
	s_mov_b32 s6, 0x3f167918
	v_pk_add_f32 v[68:69], v[62:63], v[66:67] op_sel:[0,1] op_sel_hi:[1,0] neg_lo:[0,1] neg_hi:[0,1]
	v_pk_add_f32 v[62:63], v[62:63], v[66:67] op_sel:[0,1] op_sel_hi:[1,0]
	v_pk_add_f32 v[66:67], v[10:11], v[8:9] neg_lo:[0,1] neg_hi:[0,1]
	v_lshlrev_b32_e32 v31, 3, v58
	v_pk_mul_f32 v[70:71], v[66:67], s[6:7] op_sel_hi:[1,0]
	v_pk_add_f32 v[58:59], v[4:5], v[2:3]
	v_pk_add_f32 v[62:63], v[62:63], v[70:71] op_sel:[0,1] op_sel_hi:[1,0]
	v_pk_add_f32 v[68:69], v[68:69], v[70:71] op_sel:[0,1] op_sel_hi:[1,0] neg_lo:[0,1] neg_hi:[0,1]
	v_pk_add_f32 v[58:59], v[58:59], v[10:11]
	v_mul_u32_u24_e32 v29, 0x500, v27
	v_pk_add_f32 v[58:59], v[58:59], v[8:9]
	s_mov_b32 s10, 0x3e9e377a
	v_mov_b32_e32 v70, v68
	v_mov_b32_e32 v71, v63
	v_add3_u32 v29, 0, v29, v31
	v_pk_add_f32 v[58:59], v[58:59], v[16:17]
	v_pk_fma_f32 v[70:71], v[60:61], s[10:11], v[70:71] op_sel_hi:[1,0,1]
	ds_write2_b64 v29, v[58:59], v[70:71] offset1:32
	v_pk_add_f32 v[58:59], v[2:3], v[16:17]
	v_pk_add_f32 v[2:3], v[10:11], v[2:3] neg_lo:[0,1] neg_hi:[0,1]
	v_pk_add_f32 v[8:9], v[8:9], v[16:17] neg_lo:[0,1] neg_hi:[0,1]
	v_pk_fma_f32 v[4:5], v[58:59], 0.5, v[4:5] op_sel_hi:[1,0,1] neg_lo:[1,0,0] neg_hi:[1,0,0]
	v_pk_add_f32 v[2:3], v[2:3], v[8:9]
	v_pk_mul_f32 v[8:9], v[66:67], s[2:3] op_sel_hi:[1,0]
	v_mov_b32_e32 v63, v69
	v_pk_add_f32 v[10:11], v[4:5], v[8:9] op_sel:[0,1] op_sel_hi:[1,0]
	v_pk_add_f32 v[4:5], v[4:5], v[8:9] op_sel:[0,1] op_sel_hi:[1,0] neg_lo:[0,1] neg_hi:[0,1]
	v_pk_mul_f32 v[8:9], v[64:65], s[6:7] op_sel_hi:[1,0]
	s_nop 0
	v_pk_add_f32 v[4:5], v[4:5], v[8:9] op_sel:[0,1] op_sel_hi:[1,0]
	v_pk_add_f32 v[8:9], v[10:11], v[8:9] op_sel:[0,1] op_sel_hi:[1,0] neg_lo:[0,1] neg_hi:[0,1]
	v_mov_b32_e32 v11, v5
	v_mov_b32_e32 v10, v8
	;; [unrolled: 1-line block ×3, first 2 shown]
	v_pk_fma_f32 v[8:9], v[2:3], s[10:11], v[10:11] op_sel_hi:[1,0,1]
	v_pk_fma_f32 v[2:3], v[2:3], s[10:11], v[4:5] op_sel_hi:[1,0,1]
	ds_write2_b64 v29, v[8:9], v[2:3] offset0:64 offset1:96
	v_pk_add_f32 v[4:5], v[14:15], v[12:13] neg_lo:[0,1] neg_hi:[0,1]
	v_pk_add_f32 v[8:9], v[18:19], v[20:21] neg_lo:[0,1] neg_hi:[0,1]
	v_pk_add_f32 v[2:3], v[12:13], v[20:21]
	v_pk_add_f32 v[4:5], v[4:5], v[8:9]
	v_pk_add_f32 v[8:9], v[14:15], v[18:19] neg_lo:[0,1] neg_hi:[0,1]
	v_pk_fma_f32 v[2:3], v[2:3], 0.5, v[6:7] op_sel_hi:[1,0,1] neg_lo:[1,0,0] neg_hi:[1,0,0]
	v_pk_mul_f32 v[10:11], v[8:9], s[2:3] op_sel_hi:[1,0]
	v_pk_mul_f32 v[8:9], v[8:9], s[6:7] op_sel_hi:[1,0]
	v_pk_add_f32 v[16:17], v[2:3], v[10:11] op_sel:[0,1] op_sel_hi:[1,0] neg_lo:[0,1] neg_hi:[0,1]
	v_pk_add_f32 v[2:3], v[2:3], v[10:11] op_sel:[0,1] op_sel_hi:[1,0]
	v_pk_add_f32 v[10:11], v[12:13], v[20:21] neg_lo:[0,1] neg_hi:[0,1]
	s_nop 0
	v_pk_mul_f32 v[58:59], v[10:11], s[6:7] op_sel_hi:[1,0]
	v_pk_mul_f32 v[10:11], v[10:11], s[2:3] op_sel_hi:[1,0]
	v_pk_add_f32 v[2:3], v[2:3], v[58:59] op_sel:[0,1] op_sel_hi:[1,0]
	v_pk_add_f32 v[16:17], v[16:17], v[58:59] op_sel:[0,1] op_sel_hi:[1,0] neg_lo:[0,1] neg_hi:[0,1]
	v_pk_add_f32 v[58:59], v[6:7], v[14:15]
	v_mov_b32_e32 v64, v16
	v_pk_add_f32 v[58:59], v[58:59], v[12:13]
	v_mov_b32_e32 v65, v3
	v_pk_add_f32 v[58:59], v[58:59], v[20:21]
	v_pk_fma_f32 v[64:65], v[4:5], s[10:11], v[64:65] op_sel_hi:[1,0,1]
	v_pk_add_f32 v[58:59], v[58:59], v[18:19]
	v_add_u32_e32 v3, 0x1800, v29
	ds_write2_b64 v3, v[58:59], v[64:65] offset0:32 offset1:64
	v_pk_fma_f32 v[58:59], v[60:61], s[10:11], v[62:63] op_sel_hi:[1,0,1]
	ds_write_b64 v29, v[58:59] offset:1024
	v_pk_add_f32 v[58:59], v[14:15], v[18:19]
	v_pk_add_f32 v[12:13], v[12:13], v[14:15] neg_lo:[0,1] neg_hi:[0,1]
	v_pk_fma_f32 v[6:7], v[58:59], 0.5, v[6:7] op_sel_hi:[1,0,1] neg_lo:[1,0,0] neg_hi:[1,0,0]
	v_pk_add_f32 v[18:19], v[20:21], v[18:19] neg_lo:[0,1] neg_hi:[0,1]
	v_pk_add_f32 v[58:59], v[24:25], v[22:23]
	v_pk_add_f32 v[12:13], v[12:13], v[18:19]
	v_pk_add_f32 v[18:19], v[6:7], v[10:11] op_sel:[0,1] op_sel_hi:[1,0]
	v_pk_add_f32 v[6:7], v[6:7], v[10:11] op_sel:[0,1] op_sel_hi:[1,0] neg_lo:[0,1] neg_hi:[0,1]
	v_pk_add_f32 v[14:15], v[36:37], v[42:43]
	v_pk_add_f32 v[6:7], v[6:7], v[8:9] op_sel:[0,1] op_sel_hi:[1,0]
	v_pk_add_f32 v[8:9], v[18:19], v[8:9] op_sel:[0,1] op_sel_hi:[1,0] neg_lo:[0,1] neg_hi:[0,1]
	v_mov_b32_e32 v11, v7
	v_mov_b32_e32 v10, v8
	;; [unrolled: 1-line block ×3, first 2 shown]
	v_pk_fma_f32 v[10:11], v[12:13], s[10:11], v[10:11] op_sel_hi:[1,0,1]
	v_pk_fma_f32 v[6:7], v[12:13], s[10:11], v[6:7] op_sel_hi:[1,0,1]
	ds_write2_b64 v3, v[10:11], v[6:7] offset0:96 offset1:128
	v_mov_b32_e32 v3, v17
	v_pk_fma_f32 v[2:3], v[4:5], s[10:11], v[2:3] op_sel_hi:[1,0,1]
	v_pk_add_f32 v[4:5], v[34:35], v[32:33]
	v_pk_add_f32 v[6:7], v[22:23], v[38:39] neg_lo:[0,1] neg_hi:[0,1]
	v_pk_fma_f32 v[4:5], v[4:5], 0.5, v[24:25] op_sel_hi:[1,0,1] neg_lo:[1,0,0] neg_hi:[1,0,0]
	v_pk_mul_f32 v[8:9], v[6:7], s[2:3] op_sel_hi:[1,0]
	v_pk_add_f32 v[10:11], v[34:35], v[32:33] neg_lo:[0,1] neg_hi:[0,1]
	v_pk_add_f32 v[16:17], v[22:23], v[34:35] neg_lo:[0,1] neg_hi:[0,1]
	;; [unrolled: 1-line block ×3, first 2 shown]
	v_pk_mul_f32 v[12:13], v[10:11], s[6:7] op_sel_hi:[1,0]
	v_pk_add_f32 v[16:17], v[16:17], v[18:19]
	v_pk_add_f32 v[18:19], v[4:5], v[8:9] op_sel:[0,1] op_sel_hi:[1,0] neg_lo:[0,1] neg_hi:[0,1]
	v_pk_add_f32 v[4:5], v[4:5], v[8:9] op_sel:[0,1] op_sel_hi:[1,0]
	ds_write_b64 v29, v[2:3] offset:7424
	v_pk_add_f32 v[2:3], v[58:59], v[34:35]
	v_pk_add_f32 v[4:5], v[4:5], v[12:13] op_sel:[0,1] op_sel_hi:[1,0]
	v_pk_add_f32 v[8:9], v[18:19], v[12:13] op_sel:[0,1] op_sel_hi:[1,0] neg_lo:[0,1] neg_hi:[0,1]
	v_pk_add_f32 v[2:3], v[2:3], v[32:33]
	v_mov_b32_e32 v12, v8
	v_mov_b32_e32 v13, v5
	v_pk_add_f32 v[2:3], v[2:3], v[38:39]
	v_pk_fma_f32 v[12:13], v[16:17], s[10:11], v[12:13] op_sel_hi:[1,0,1]
	v_add_u32_e32 v5, 0x3000, v29
	ds_write2_b64 v5, v[2:3], v[12:13] offset0:64 offset1:96
	v_pk_add_f32 v[2:3], v[22:23], v[38:39]
	v_pk_add_f32 v[12:13], v[34:35], v[22:23] neg_lo:[0,1] neg_hi:[0,1]
	v_pk_fma_f32 v[2:3], v[2:3], 0.5, v[24:25] op_sel_hi:[1,0,1] neg_lo:[1,0,0] neg_hi:[1,0,0]
	v_pk_add_f32 v[18:19], v[32:33], v[38:39] neg_lo:[0,1] neg_hi:[0,1]
	v_pk_mul_f32 v[10:11], v[10:11], s[2:3] op_sel_hi:[1,0]
	v_pk_add_f32 v[12:13], v[12:13], v[18:19]
	v_pk_mul_f32 v[6:7], v[6:7], s[6:7] op_sel_hi:[1,0]
	v_pk_add_f32 v[18:19], v[2:3], v[10:11] op_sel:[0,1] op_sel_hi:[1,0]
	v_pk_add_f32 v[2:3], v[2:3], v[10:11] op_sel:[0,1] op_sel_hi:[1,0] neg_lo:[0,1] neg_hi:[0,1]
	v_pk_add_f32 v[20:21], v[50:51], v[48:49]
	v_pk_add_f32 v[2:3], v[2:3], v[6:7] op_sel:[0,1] op_sel_hi:[1,0]
	v_pk_add_f32 v[6:7], v[18:19], v[6:7] op_sel:[0,1] op_sel_hi:[1,0] neg_lo:[0,1] neg_hi:[0,1]
	v_mov_b32_e32 v11, v3
	v_mov_b32_e32 v10, v6
	;; [unrolled: 1-line block ×3, first 2 shown]
	v_pk_fma_f32 v[10:11], v[12:13], s[10:11], v[10:11] op_sel_hi:[1,0,1]
	v_pk_fma_f32 v[2:3], v[12:13], s[10:11], v[2:3] op_sel_hi:[1,0,1]
	ds_write2_b64 v5, v[10:11], v[2:3] offset0:128 offset1:160
	v_mov_b32_e32 v5, v9
	v_pk_fma_f32 v[2:3], v[16:17], s[10:11], v[4:5] op_sel_hi:[1,0,1]
	v_pk_add_f32 v[4:5], v[40:41], v[46:47]
	v_pk_add_f32 v[6:7], v[42:43], v[44:45] neg_lo:[0,1] neg_hi:[0,1]
	ds_write_b64 v29, v[2:3] offset:13824
	v_pk_add_f32 v[2:3], v[14:15], v[40:41]
	v_pk_fma_f32 v[4:5], v[4:5], 0.5, v[36:37] op_sel_hi:[1,0,1] neg_lo:[1,0,0] neg_hi:[1,0,0]
	v_pk_mul_f32 v[8:9], v[6:7], s[2:3] op_sel_hi:[1,0]
	v_pk_add_f32 v[10:11], v[40:41], v[46:47] neg_lo:[0,1] neg_hi:[0,1]
	v_pk_add_f32 v[14:15], v[42:43], v[40:41] neg_lo:[0,1] neg_hi:[0,1]
	;; [unrolled: 1-line block ×3, first 2 shown]
	v_pk_mul_f32 v[12:13], v[10:11], s[6:7] op_sel_hi:[1,0]
	v_pk_add_f32 v[14:15], v[14:15], v[16:17]
	v_pk_add_f32 v[16:17], v[4:5], v[8:9] op_sel:[0,1] op_sel_hi:[1,0] neg_lo:[0,1] neg_hi:[0,1]
	v_pk_add_f32 v[4:5], v[4:5], v[8:9] op_sel:[0,1] op_sel_hi:[1,0]
	v_pk_add_f32 v[8:9], v[16:17], v[12:13] op_sel:[0,1] op_sel_hi:[1,0] neg_lo:[0,1] neg_hi:[0,1]
	v_pk_add_f32 v[4:5], v[4:5], v[12:13] op_sel:[0,1] op_sel_hi:[1,0]
	v_pk_add_f32 v[2:3], v[2:3], v[46:47]
	v_mov_b32_e32 v12, v8
	v_mov_b32_e32 v13, v5
	v_pk_add_f32 v[2:3], v[2:3], v[44:45]
	v_pk_fma_f32 v[12:13], v[14:15], s[10:11], v[12:13] op_sel_hi:[1,0,1]
	v_add_u32_e32 v5, 0x4800, v29
	ds_write2_b64 v5, v[2:3], v[12:13] offset0:96 offset1:128
	v_pk_add_f32 v[2:3], v[42:43], v[44:45]
	v_pk_add_f32 v[12:13], v[40:41], v[42:43] neg_lo:[0,1] neg_hi:[0,1]
	v_pk_fma_f32 v[2:3], v[2:3], 0.5, v[36:37] op_sel_hi:[1,0,1] neg_lo:[1,0,0] neg_hi:[1,0,0]
	v_pk_add_f32 v[16:17], v[46:47], v[44:45] neg_lo:[0,1] neg_hi:[0,1]
	v_pk_mul_f32 v[10:11], v[10:11], s[2:3] op_sel_hi:[1,0]
	v_pk_add_f32 v[12:13], v[12:13], v[16:17]
	v_pk_mul_f32 v[6:7], v[6:7], s[6:7] op_sel_hi:[1,0]
	v_pk_add_f32 v[16:17], v[2:3], v[10:11] op_sel:[0,1] op_sel_hi:[1,0]
	v_pk_add_f32 v[2:3], v[2:3], v[10:11] op_sel:[0,1] op_sel_hi:[1,0] neg_lo:[0,1] neg_hi:[0,1]
	s_nop 0
	v_pk_add_f32 v[2:3], v[2:3], v[6:7] op_sel:[0,1] op_sel_hi:[1,0]
	v_pk_add_f32 v[6:7], v[16:17], v[6:7] op_sel:[0,1] op_sel_hi:[1,0] neg_lo:[0,1] neg_hi:[0,1]
	v_mov_b32_e32 v11, v3
	v_mov_b32_e32 v10, v6
	;; [unrolled: 1-line block ×3, first 2 shown]
	v_pk_fma_f32 v[10:11], v[12:13], s[10:11], v[10:11] op_sel_hi:[1,0,1]
	v_pk_fma_f32 v[2:3], v[12:13], s[10:11], v[2:3] op_sel_hi:[1,0,1]
	ds_write2_b64 v5, v[10:11], v[2:3] offset0:160 offset1:192
	v_mov_b32_e32 v5, v9
	v_pk_fma_f32 v[2:3], v[14:15], s[10:11], v[4:5] op_sel_hi:[1,0,1]
	v_pk_add_f32 v[4:5], v[54:55], v[52:53]
	v_pk_add_f32 v[6:7], v[48:49], v[56:57] neg_lo:[0,1] neg_hi:[0,1]
	v_pk_fma_f32 v[4:5], v[4:5], 0.5, v[50:51] op_sel_hi:[1,0,1] neg_lo:[1,0,0] neg_hi:[1,0,0]
	v_pk_mul_f32 v[8:9], v[6:7], s[2:3] op_sel_hi:[1,0]
	v_pk_add_f32 v[10:11], v[54:55], v[52:53] neg_lo:[0,1] neg_hi:[0,1]
	v_pk_add_f32 v[14:15], v[48:49], v[54:55] neg_lo:[0,1] neg_hi:[0,1]
	;; [unrolled: 1-line block ×3, first 2 shown]
	v_pk_mul_f32 v[12:13], v[10:11], s[6:7] op_sel_hi:[1,0]
	v_pk_add_f32 v[14:15], v[14:15], v[16:17]
	v_pk_add_f32 v[16:17], v[4:5], v[8:9] op_sel:[0,1] op_sel_hi:[1,0] neg_lo:[0,1] neg_hi:[0,1]
	v_pk_add_f32 v[4:5], v[4:5], v[8:9] op_sel:[0,1] op_sel_hi:[1,0]
	ds_write_b64 v29, v[2:3] offset:20224
	v_pk_add_f32 v[2:3], v[20:21], v[54:55]
	v_pk_add_f32 v[4:5], v[4:5], v[12:13] op_sel:[0,1] op_sel_hi:[1,0]
	v_pk_add_f32 v[8:9], v[16:17], v[12:13] op_sel:[0,1] op_sel_hi:[1,0] neg_lo:[0,1] neg_hi:[0,1]
	v_pk_add_f32 v[2:3], v[2:3], v[52:53]
	v_mov_b32_e32 v12, v8
	v_mov_b32_e32 v13, v5
	v_pk_add_f32 v[2:3], v[2:3], v[56:57]
	v_pk_fma_f32 v[12:13], v[14:15], s[10:11], v[12:13] op_sel_hi:[1,0,1]
	v_add_u32_e32 v5, 0x6000, v29
	ds_write2_b64 v5, v[2:3], v[12:13] offset0:128 offset1:160
	v_pk_add_f32 v[2:3], v[48:49], v[56:57]
	v_pk_add_f32 v[12:13], v[54:55], v[48:49] neg_lo:[0,1] neg_hi:[0,1]
	v_pk_fma_f32 v[2:3], v[2:3], 0.5, v[50:51] op_sel_hi:[1,0,1] neg_lo:[1,0,0] neg_hi:[1,0,0]
	v_pk_add_f32 v[16:17], v[52:53], v[56:57] neg_lo:[0,1] neg_hi:[0,1]
	v_pk_mul_f32 v[10:11], v[10:11], s[2:3] op_sel_hi:[1,0]
	v_pk_add_f32 v[12:13], v[12:13], v[16:17]
	v_pk_mul_f32 v[6:7], v[6:7], s[6:7] op_sel_hi:[1,0]
	v_pk_add_f32 v[16:17], v[2:3], v[10:11] op_sel:[0,1] op_sel_hi:[1,0]
	v_pk_add_f32 v[2:3], v[2:3], v[10:11] op_sel:[0,1] op_sel_hi:[1,0] neg_lo:[0,1] neg_hi:[0,1]
	s_movk_i32 s3, 0xcd
	v_pk_add_f32 v[2:3], v[2:3], v[6:7] op_sel:[0,1] op_sel_hi:[1,0]
	v_pk_add_f32 v[6:7], v[16:17], v[6:7] op_sel:[0,1] op_sel_hi:[1,0] neg_lo:[0,1] neg_hi:[0,1]
	v_mov_b32_e32 v11, v3
	v_mov_b32_e32 v10, v6
	;; [unrolled: 1-line block ×3, first 2 shown]
	v_pk_fma_f32 v[10:11], v[12:13], s[10:11], v[10:11] op_sel_hi:[1,0,1]
	v_pk_fma_f32 v[2:3], v[12:13], s[10:11], v[2:3] op_sel_hi:[1,0,1]
	ds_write2_b64 v5, v[10:11], v[2:3] offset0:192 offset1:224
	v_mov_b32_e32 v5, v9
	v_pk_fma_f32 v[2:3], v[14:15], s[10:11], v[4:5] op_sel_hi:[1,0,1]
	ds_write_b64 v29, v[2:3] offset:26624
	v_mul_lo_u16_sdwa v2, v92, s3 dst_sel:DWORD dst_unused:UNUSED_PAD src0_sel:BYTE_0 src1_sel:DWORD
	v_lshrrev_b16_e32 v54, 10, v2
	v_mul_lo_u16_e32 v2, 5, v54
	v_sub_u16_e32 v2, v92, v2
	v_and_b32_e32 v55, 0xff, v2
	v_mul_lo_u16_sdwa v2, v91, s3 dst_sel:DWORD dst_unused:UNUSED_PAD src0_sel:BYTE_0 src1_sel:DWORD
	v_lshrrev_b16_e32 v57, 10, v2
	v_mul_lo_u16_e32 v2, 5, v57
	v_lshlrev_b32_e32 v14, 5, v55
	v_sub_u16_e32 v2, v91, v2
	s_waitcnt lgkmcnt(0)
	s_barrier
	global_load_dwordx4 v[10:13], v14, s[12:13]
	v_and_b32_e32 v58, 0xff, v2
	v_mul_lo_u16_sdwa v2, v90, s3 dst_sel:DWORD dst_unused:UNUSED_PAD src0_sel:BYTE_0 src1_sel:DWORD
	v_lshrrev_b16_e32 v59, 10, v2
	v_lshlrev_b32_e32 v15, 5, v58
	global_load_dwordx4 v[6:9], v15, s[12:13]
	v_mul_lo_u16_e32 v2, 5, v59
	v_sub_u16_e32 v2, v90, v2
	v_and_b32_e32 v60, 0xff, v2
	v_lshlrev_b32_e32 v16, 5, v60
	global_load_dwordx4 v[2:5], v16, s[12:13]
	v_mul_lo_u16_sdwa v17, v1, s3 dst_sel:DWORD dst_unused:UNUSED_PAD src0_sel:BYTE_0 src1_sel:DWORD
	v_lshrrev_b16_e32 v93, 10, v17
	v_mul_lo_u16_e32 v17, 5, v93
	v_sub_u16_e32 v17, v1, v17
	v_and_b32_e32 v122, 0xff, v17
	v_lshlrev_b32_e32 v17, 5, v122
	global_load_dwordx4 v[36:39], v17, s[12:13]
	v_mul_lo_u16_sdwa v18, v27, s3 dst_sel:DWORD dst_unused:UNUSED_PAD src0_sel:BYTE_0 src1_sel:DWORD
	v_lshrrev_b16_e32 v123, 10, v18
	v_mul_lo_u16_e32 v18, 5, v123
	v_sub_u16_e32 v18, v27, v18
	v_and_b32_e32 v124, 0xff, v18
	v_lshlrev_b32_e32 v18, 5, v124
	global_load_dwordx4 v[40:43], v18, s[12:13]
	global_load_dwordx4 v[64:67], v14, s[12:13] offset:16
	global_load_dwordx4 v[72:75], v15, s[12:13] offset:16
	;; [unrolled: 1-line block ×5, first 2 shown]
	v_lshlrev_b32_e32 v14, 8, v27
	v_add3_u32 v29, 0, v14, v31
	v_add_u32_e32 v61, 0x2c00, v29
	ds_read2_b64 v[48:51], v61 offset0:32 offset1:192
	v_add_u32_e32 v63, 0x4000, v29
	ds_read2_b64 v[32:35], v63 offset0:32 offset1:192
	;; [unrolled: 2-line block ×4, first 2 shown]
	v_add_u32_e32 v76, 0x1800, v29
	v_add_u32_e32 v52, 0x5400, v29
	v_add_u32_e32 v71, 0x6800, v29
	v_add_u32_e32 v77, 0x4a00, v29
	s_waitcnt vmcnt(9) lgkmcnt(3)
	v_pk_mul_f32 v[16:17], v[48:49], v[10:11] op_sel:[0,1]
	s_nop 0
	v_pk_fma_f32 v[14:15], v[48:49], v[10:11], v[16:17] op_sel:[0,0,1] op_sel_hi:[1,1,0]
	v_pk_fma_f32 v[18:19], v[48:49], v[10:11], v[16:17] op_sel:[0,0,1] op_sel_hi:[1,0,0] neg_lo:[0,0,1] neg_hi:[0,0,1]
	v_mov_b32_e32 v10, v13
	s_waitcnt lgkmcnt(2)
	v_pk_mul_f32 v[16:17], v[34:35], v[10:11] op_sel_hi:[1,0]
	v_mov_b32_e32 v15, v19
	v_pk_fma_f32 v[10:11], v[34:35], v[12:13], v[16:17] op_sel:[0,0,1] op_sel_hi:[1,1,0]
	v_pk_fma_f32 v[20:21], v[34:35], v[12:13], v[16:17] op_sel:[0,0,1] op_sel_hi:[1,0,0] neg_lo:[0,0,1] neg_hi:[0,0,1]
	s_waitcnt vmcnt(8) lgkmcnt(1)
	v_pk_mul_f32 v[16:17], v[46:47], v[6:7] op_sel:[0,1]
	v_mov_b32_e32 v11, v21
	v_pk_fma_f32 v[12:13], v[46:47], v[6:7], v[16:17] op_sel:[0,0,1] op_sel_hi:[1,1,0]
	v_pk_fma_f32 v[22:23], v[46:47], v[6:7], v[16:17] op_sel:[0,0,1] op_sel_hi:[1,0,0] neg_lo:[0,0,1] neg_hi:[0,0,1]
	v_mov_b32_e32 v6, v9
	v_pk_mul_f32 v[16:17], v[32:33], v[6:7] op_sel_hi:[1,0]
	v_mov_b32_e32 v13, v23
	v_pk_fma_f32 v[6:7], v[32:33], v[8:9], v[16:17] op_sel:[0,0,1] op_sel_hi:[1,1,0]
	v_pk_fma_f32 v[32:33], v[32:33], v[8:9], v[16:17] op_sel:[0,0,1] op_sel_hi:[1,0,0] neg_lo:[0,0,1] neg_hi:[0,0,1]
	s_waitcnt vmcnt(7)
	v_pk_mul_f32 v[8:9], v[44:45], v[2:3] op_sel:[0,1]
	v_add_u32_e32 v32, 0x5e00, v29
	v_pk_fma_f32 v[24:25], v[44:45], v[2:3], v[8:9] op_sel:[0,0,1] op_sel_hi:[1,1,0]
	v_pk_fma_f32 v[46:47], v[44:45], v[2:3], v[8:9] op_sel:[0,0,1] op_sel_hi:[1,0,0] neg_lo:[0,0,1] neg_hi:[0,0,1]
	v_mov_b32_e32 v2, v5
	s_waitcnt lgkmcnt(0)
	v_pk_mul_f32 v[2:3], v[96:97], v[2:3] op_sel_hi:[1,0]
	s_waitcnt vmcnt(6)
	v_mov_b32_e32 v8, v39
	v_pk_fma_f32 v[34:35], v[96:97], v[4:5], v[2:3] op_sel:[0,0,1] op_sel_hi:[1,1,0]
	v_pk_fma_f32 v[48:49], v[96:97], v[4:5], v[2:3] op_sel:[0,0,1] op_sel_hi:[1,0,0] neg_lo:[0,0,1] neg_hi:[0,0,1]
	ds_read2_b64 v[2:5], v76 offset0:32 offset1:192
	v_pk_mul_f32 v[8:9], v[94:95], v[8:9] op_sel_hi:[1,0]
	v_add_u32_e32 v46, 0x7200, v29
	v_pk_fma_f32 v[98:99], v[94:95], v[38:39], v[8:9] op_sel:[0,0,1] op_sel_hi:[1,1,0]
	v_pk_fma_f32 v[100:101], v[94:95], v[38:39], v[8:9] op_sel:[0,0,1] op_sel_hi:[1,0,0] neg_lo:[0,0,1] neg_hi:[0,0,1]
	s_waitcnt lgkmcnt(0)
	v_pk_mul_f32 v[8:9], v[4:5], v[36:37] op_sel:[0,1]
	ds_read2_b64 v[94:97], v32 offset0:32 offset1:192
	v_pk_fma_f32 v[102:103], v[4:5], v[36:37], v[8:9] op_sel:[0,0,1] op_sel_hi:[1,1,0]
	v_pk_fma_f32 v[104:105], v[4:5], v[36:37], v[8:9] op_sel:[0,0,1] op_sel_hi:[1,0,0] neg_lo:[0,0,1] neg_hi:[0,0,1]
	s_waitcnt vmcnt(5)
	v_pk_mul_f32 v[4:5], v[2:3], v[40:41] op_sel:[0,1]
	s_waitcnt vmcnt(2)
	v_mov_b32_e32 v18, v81
	v_pk_fma_f32 v[106:107], v[2:3], v[40:41], v[4:5] op_sel:[0,0,1] op_sel_hi:[1,1,0]
	v_pk_fma_f32 v[108:109], v[2:3], v[40:41], v[4:5] op_sel:[0,0,1] op_sel_hi:[1,0,0] neg_lo:[0,0,1] neg_hi:[0,0,1]
	v_mov_b32_e32 v2, v43
	v_pk_mul_f32 v[2:3], v[50:51], v[2:3] op_sel_hi:[1,0]
	s_waitcnt lgkmcnt(0)
	v_pk_mul_f32 v[4:5], v[94:95], v[64:65] op_sel:[0,1]
	v_pk_fma_f32 v[110:111], v[50:51], v[42:43], v[2:3] op_sel:[0,0,1] op_sel_hi:[1,1,0]
	v_pk_fma_f32 v[112:113], v[50:51], v[42:43], v[2:3] op_sel:[0,0,1] op_sel_hi:[1,0,0] neg_lo:[0,0,1] neg_hi:[0,0,1]
	ds_read2_b64 v[40:43], v46 offset0:32 offset1:192
	v_pk_fma_f32 v[2:3], v[94:95], v[64:65], v[4:5] op_sel:[0,0,1] op_sel_hi:[1,1,0]
	v_pk_fma_f32 v[36:37], v[94:95], v[64:65], v[4:5] op_sel:[0,0,1] op_sel_hi:[1,0,0] neg_lo:[0,0,1] neg_hi:[0,0,1]
	v_mov_b32_e32 v4, v67
	v_mov_b32_e32 v107, v109
	s_waitcnt lgkmcnt(0)
	v_pk_mul_f32 v[8:9], v[42:43], v[4:5] op_sel_hi:[1,0]
	v_mov_b32_e32 v111, v113
	v_pk_fma_f32 v[4:5], v[42:43], v[66:67], v[8:9] op_sel:[0,0,1] op_sel_hi:[1,1,0]
	v_pk_fma_f32 v[38:39], v[42:43], v[66:67], v[8:9] op_sel:[0,0,1] op_sel_hi:[1,0,0] neg_lo:[0,0,1] neg_hi:[0,0,1]
	ds_read2_b64 v[64:67], v52 offset0:32 offset1:192
	v_mov_b32_e32 v8, v75
	v_pk_mul_f32 v[16:17], v[40:41], v[8:9] op_sel_hi:[1,0]
	v_lshlrev_b32_e32 v3, 8, v1
	v_pk_fma_f32 v[8:9], v[40:41], v[74:75], v[16:17] op_sel:[0,0,1] op_sel_hi:[1,1,0]
	s_waitcnt lgkmcnt(0)
	v_pk_mul_f32 v[42:43], v[66:67], v[72:73] op_sel:[0,1]
	v_pk_fma_f32 v[40:41], v[40:41], v[74:75], v[16:17] op_sel:[0,0,1] op_sel_hi:[1,0,0] neg_lo:[0,0,1] neg_hi:[0,0,1]
	v_pk_fma_f32 v[16:17], v[66:67], v[72:73], v[42:43] op_sel:[0,0,1] op_sel_hi:[1,1,0]
	v_pk_fma_f32 v[44:45], v[66:67], v[72:73], v[42:43] op_sel:[0,0,1] op_sel_hi:[1,0,0] neg_lo:[0,0,1] neg_hi:[0,0,1]
	ds_read2_b64 v[66:69], v71 offset0:32 offset1:192
	v_pk_mul_f32 v[50:51], v[64:65], v[78:79] op_sel:[0,1]
	v_lshlrev_b32_e32 v5, 8, v92
	v_pk_fma_f32 v[42:43], v[64:65], v[78:79], v[50:51] op_sel:[0,0,1] op_sel_hi:[1,1,0]
	v_pk_fma_f32 v[64:65], v[64:65], v[78:79], v[50:51] op_sel:[0,0,1] op_sel_hi:[1,0,0] neg_lo:[0,0,1] neg_hi:[0,0,1]
	s_waitcnt lgkmcnt(0)
	v_pk_mul_f32 v[72:73], v[68:69], v[18:19] op_sel_hi:[1,0]
	s_waitcnt vmcnt(1)
	v_mov_b32_e32 v18, v85
	v_pk_fma_f32 v[50:51], v[68:69], v[80:81], v[72:73] op_sel:[0,0,1] op_sel_hi:[1,1,0]
	v_pk_fma_f32 v[68:69], v[68:69], v[80:81], v[72:73] op_sel:[0,0,1] op_sel_hi:[1,0,0] neg_lo:[0,0,1] neg_hi:[0,0,1]
	ds_read2_b64 v[72:75], v77 offset0:32 offset1:192
	v_pk_mul_f32 v[78:79], v[66:67], v[18:19] op_sel_hi:[1,0]
	s_waitcnt vmcnt(0)
	v_mov_b32_e32 v18, v89
	v_pk_fma_f32 v[80:81], v[66:67], v[84:85], v[78:79] op_sel:[0,0,1] op_sel_hi:[1,1,0]
	v_pk_fma_f32 v[66:67], v[66:67], v[84:85], v[78:79] op_sel:[0,0,1] op_sel_hi:[1,0,0] neg_lo:[0,0,1] neg_hi:[0,0,1]
	s_waitcnt lgkmcnt(0)
	v_pk_mul_f32 v[78:79], v[74:75], v[82:83] op_sel:[0,1]
	v_add3_u32 v38, 0, v5, v31
	v_pk_fma_f32 v[84:85], v[74:75], v[82:83], v[78:79] op_sel:[0,0,1] op_sel_hi:[1,1,0]
	v_pk_fma_f32 v[74:75], v[74:75], v[82:83], v[78:79] op_sel:[0,0,1] op_sel_hi:[1,0,0] neg_lo:[0,0,1] neg_hi:[0,0,1]
	v_pk_mul_f32 v[78:79], v[72:73], v[86:87] op_sel:[0,1]
	v_mov_b32_e32 v103, v105
	v_pk_fma_f32 v[82:83], v[72:73], v[86:87], v[78:79] op_sel:[0,0,1] op_sel_hi:[1,1,0]
	v_pk_fma_f32 v[72:73], v[72:73], v[86:87], v[78:79] op_sel:[0,0,1] op_sel_hi:[1,0,0] neg_lo:[0,0,1] neg_hi:[0,0,1]
	v_pk_mul_f32 v[78:79], v[96:97], v[18:19] op_sel_hi:[1,0]
	v_mov_b32_e32 v83, v73
	v_pk_fma_f32 v[86:87], v[96:97], v[88:89], v[78:79] op_sel:[0,0,1] op_sel_hi:[1,1,0]
	v_pk_fma_f32 v[78:79], v[96:97], v[88:89], v[78:79] op_sel:[0,0,1] op_sel_hi:[1,0,0] neg_lo:[0,0,1] neg_hi:[0,0,1]
	ds_read_b64 v[88:89], v29
	v_mov_b32_e32 v87, v79
	v_pk_add_f32 v[72:73], v[110:111], v[106:107] neg_lo:[0,1] neg_hi:[0,1]
	v_pk_add_f32 v[78:79], v[82:83], v[86:87] neg_lo:[0,1] neg_hi:[0,1]
	v_pk_add_f32 v[94:95], v[106:107], v[86:87]
	v_pk_add_f32 v[78:79], v[72:73], v[78:79]
	v_add3_u32 v72, 0, v3, v31
	v_lshlrev_b32_e32 v3, 8, v90
	v_pk_add_f32 v[114:115], v[110:111], v[82:83] neg_lo:[0,1] neg_hi:[0,1]
	v_add3_u32 v62, 0, v3, v31
	v_lshlrev_b32_e32 v3, 8, v91
	s_waitcnt lgkmcnt(0)
	v_pk_fma_f32 v[94:95], v[94:95], 0.5, v[88:89] op_sel_hi:[1,0,1] neg_lo:[1,0,0] neg_hi:[1,0,0]
	v_pk_mul_f32 v[116:117], v[114:115], s[2:3] op_sel_hi:[1,0]
	v_add3_u32 v56, 0, v3, v31
	v_pk_add_f32 v[118:119], v[94:95], v[116:117] op_sel:[0,1] op_sel_hi:[1,0]
	v_pk_add_f32 v[94:95], v[94:95], v[116:117] op_sel:[0,1] op_sel_hi:[1,0] neg_lo:[0,1] neg_hi:[0,1]
	v_pk_add_f32 v[116:117], v[106:107], v[86:87] neg_lo:[0,1] neg_hi:[0,1]
	v_mul_lo_u16_e32 v3, 25, v123
	v_pk_mul_f32 v[120:121], v[116:117], s[6:7] op_sel_hi:[1,0]
	v_and_b32_e32 v3, 0xff, v3
	v_pk_add_f32 v[94:95], v[94:95], v[120:121] op_sel:[0,1] op_sel_hi:[1,0]
	v_pk_add_f32 v[118:119], v[118:119], v[120:121] op_sel:[0,1] op_sel_hi:[1,0] neg_lo:[0,1] neg_hi:[0,1]
	v_add_lshl_u32 v3, v3, v124, 8
	v_mov_b32_e32 v120, v118
	v_mov_b32_e32 v121, v95
	v_mov_b32_e32 v95, v119
	v_add3_u32 v3, 0, v3, v31
	v_pk_fma_f32 v[118:119], v[78:79], s[10:11], v[120:121] op_sel_hi:[1,0,1]
	v_pk_fma_f32 v[78:79], v[78:79], s[10:11], v[94:95] op_sel_hi:[1,0,1]
	v_add_u32_e32 v5, 0x800, v3
	ds_read_b64 v[96:97], v56
	ds_read_b64 v[108:109], v62
	;; [unrolled: 1-line block ×4, first 2 shown]
	s_waitcnt lgkmcnt(0)
	s_barrier
	ds_write2_b64 v5, v[118:119], v[78:79] offset0:64 offset1:224
	v_pk_add_f32 v[78:79], v[110:111], v[82:83]
	v_mov_b32_e32 v99, v101
	v_pk_fma_f32 v[78:79], v[78:79], 0.5, v[88:89] op_sel_hi:[1,0,1] neg_lo:[1,0,0] neg_hi:[1,0,0]
	v_pk_add_f32 v[88:89], v[88:89], v[106:107]
	v_pk_add_f32 v[106:107], v[106:107], v[110:111] neg_lo:[0,1] neg_hi:[0,1]
	v_pk_add_f32 v[88:89], v[88:89], v[110:111]
	v_mov_b32_e32 v85, v75
	v_pk_add_f32 v[88:89], v[88:89], v[82:83]
	v_pk_add_f32 v[82:83], v[86:87], v[82:83] neg_lo:[0,1] neg_hi:[0,1]
	v_pk_add_f32 v[88:89], v[88:89], v[86:87]
	v_pk_mul_f32 v[86:87], v[116:117], s[2:3] op_sel_hi:[1,0]
	v_pk_add_f32 v[82:83], v[106:107], v[82:83]
	v_pk_add_f32 v[106:107], v[78:79], v[86:87] op_sel:[0,1] op_sel_hi:[1,0] neg_lo:[0,1] neg_hi:[0,1]
	v_pk_add_f32 v[78:79], v[78:79], v[86:87] op_sel:[0,1] op_sel_hi:[1,0]
	v_pk_mul_f32 v[86:87], v[114:115], s[6:7] op_sel_hi:[1,0]
	v_mov_b32_e32 v81, v67
	v_pk_add_f32 v[78:79], v[78:79], v[86:87] op_sel:[0,1] op_sel_hi:[1,0]
	v_pk_add_f32 v[86:87], v[106:107], v[86:87] op_sel:[0,1] op_sel_hi:[1,0] neg_lo:[0,1] neg_hi:[0,1]
	v_mov_b32_e32 v107, v79
	v_mov_b32_e32 v79, v87
	v_pk_fma_f32 v[78:79], v[82:83], s[10:11], v[78:79] op_sel_hi:[1,0,1]
	v_pk_add_f32 v[66:67], v[98:99], v[102:103] neg_lo:[0,1] neg_hi:[0,1]
	v_pk_add_f32 v[74:75], v[84:85], v[80:81] neg_lo:[0,1] neg_hi:[0,1]
	v_mov_b32_e32 v106, v86
	ds_write_b64 v3, v[78:79] offset:5120
	v_pk_add_f32 v[66:67], v[66:67], v[74:75]
	v_pk_add_f32 v[74:75], v[102:103], v[80:81]
	v_pk_add_f32 v[78:79], v[98:99], v[84:85] neg_lo:[0,1] neg_hi:[0,1]
	v_pk_fma_f32 v[106:107], v[82:83], s[10:11], v[106:107] op_sel_hi:[1,0,1]
	v_pk_fma_f32 v[74:75], v[74:75], 0.5, v[112:113] op_sel_hi:[1,0,1] neg_lo:[1,0,0] neg_hi:[1,0,0]
	v_pk_mul_f32 v[82:83], v[78:79], s[2:3] op_sel_hi:[1,0]
	ds_write2_b64 v3, v[88:89], v[106:107] offset1:160
	v_pk_add_f32 v[86:87], v[74:75], v[82:83] op_sel:[0,1] op_sel_hi:[1,0]
	v_pk_add_f32 v[74:75], v[74:75], v[82:83] op_sel:[0,1] op_sel_hi:[1,0] neg_lo:[0,1] neg_hi:[0,1]
	v_pk_add_f32 v[82:83], v[102:103], v[80:81] neg_lo:[0,1] neg_hi:[0,1]
	v_mul_u32_u24_e32 v3, 25, v93
	v_pk_mul_f32 v[88:89], v[82:83], s[6:7] op_sel_hi:[1,0]
	v_add_lshl_u32 v3, v3, v122, 8
	v_pk_add_f32 v[74:75], v[74:75], v[88:89] op_sel:[0,1] op_sel_hi:[1,0]
	v_pk_add_f32 v[86:87], v[86:87], v[88:89] op_sel:[0,1] op_sel_hi:[1,0] neg_lo:[0,1] neg_hi:[0,1]
	v_mov_b32_e32 v89, v75
	v_mov_b32_e32 v88, v86
	;; [unrolled: 1-line block ×3, first 2 shown]
	v_add3_u32 v3, 0, v3, v31
	v_pk_fma_f32 v[86:87], v[66:67], s[10:11], v[88:89] op_sel_hi:[1,0,1]
	v_pk_fma_f32 v[66:67], v[66:67], s[10:11], v[74:75] op_sel_hi:[1,0,1]
	v_add_u32_e32 v5, 0x800, v3
	v_pk_add_f32 v[74:75], v[112:113], v[102:103]
	ds_write2_b64 v5, v[86:87], v[66:67] offset0:64 offset1:224
	v_pk_add_f32 v[66:67], v[98:99], v[84:85]
	v_pk_add_f32 v[74:75], v[74:75], v[98:99]
	v_pk_fma_f32 v[66:67], v[66:67], 0.5, v[112:113] op_sel_hi:[1,0,1] neg_lo:[1,0,0] neg_hi:[1,0,0]
	v_pk_add_f32 v[74:75], v[74:75], v[84:85]
	v_pk_mul_f32 v[82:83], v[82:83], s[2:3] op_sel_hi:[1,0]
	v_pk_add_f32 v[74:75], v[74:75], v[80:81]
	v_pk_add_f32 v[80:81], v[80:81], v[84:85] neg_lo:[0,1] neg_hi:[0,1]
	v_pk_add_f32 v[84:85], v[66:67], v[82:83] op_sel:[0,1] op_sel_hi:[1,0] neg_lo:[0,1] neg_hi:[0,1]
	v_pk_add_f32 v[66:67], v[66:67], v[82:83] op_sel:[0,1] op_sel_hi:[1,0]
	v_pk_mul_f32 v[78:79], v[78:79], s[6:7] op_sel_hi:[1,0]
	v_pk_add_f32 v[86:87], v[102:103], v[98:99] neg_lo:[0,1] neg_hi:[0,1]
	v_pk_add_f32 v[66:67], v[66:67], v[78:79] op_sel:[0,1] op_sel_hi:[1,0]
	v_pk_add_f32 v[78:79], v[84:85], v[78:79] op_sel:[0,1] op_sel_hi:[1,0] neg_lo:[0,1] neg_hi:[0,1]
	v_pk_add_f32 v[80:81], v[86:87], v[80:81]
	v_mov_b32_e32 v83, v67
	v_mov_b32_e32 v67, v79
	;; [unrolled: 1-line block ×6, first 2 shown]
	v_pk_fma_f32 v[66:67], v[80:81], s[10:11], v[66:67] op_sel_hi:[1,0,1]
	v_pk_add_f32 v[48:49], v[24:25], v[34:35] neg_lo:[0,1] neg_hi:[0,1]
	v_pk_add_f32 v[64:65], v[50:51], v[42:43] neg_lo:[0,1] neg_hi:[0,1]
	v_mov_b32_e32 v82, v78
	ds_write_b64 v3, v[66:67] offset:5120
	v_pk_add_f32 v[48:49], v[48:49], v[64:65]
	v_pk_add_f32 v[64:65], v[34:35], v[42:43]
	v_pk_add_f32 v[66:67], v[24:25], v[50:51] neg_lo:[0,1] neg_hi:[0,1]
	v_pk_fma_f32 v[82:83], v[80:81], s[10:11], v[82:83] op_sel_hi:[1,0,1]
	v_pk_fma_f32 v[64:65], v[64:65], 0.5, v[108:109] op_sel_hi:[1,0,1] neg_lo:[1,0,0] neg_hi:[1,0,0]
	v_pk_mul_f32 v[68:69], v[66:67], s[2:3] op_sel_hi:[1,0]
	ds_write2_b64 v3, v[74:75], v[82:83] offset1:160
	v_pk_add_f32 v[74:75], v[64:65], v[68:69] op_sel:[0,1] op_sel_hi:[1,0] neg_lo:[0,1] neg_hi:[0,1]
	v_pk_add_f32 v[64:65], v[64:65], v[68:69] op_sel:[0,1] op_sel_hi:[1,0]
	v_pk_add_f32 v[68:69], v[34:35], v[42:43] neg_lo:[0,1] neg_hi:[0,1]
	v_mul_u32_u24_e32 v3, 25, v59
	v_pk_mul_f32 v[78:79], v[68:69], s[6:7] op_sel_hi:[1,0]
	v_pk_add_f32 v[18:19], v[24:25], v[50:51]
	v_pk_add_f32 v[64:65], v[64:65], v[78:79] op_sel:[0,1] op_sel_hi:[1,0]
	v_pk_add_f32 v[74:75], v[74:75], v[78:79] op_sel:[0,1] op_sel_hi:[1,0] neg_lo:[0,1] neg_hi:[0,1]
	v_pk_add_f32 v[78:79], v[108:109], v[24:25]
	v_pk_add_f32 v[20:21], v[34:35], v[24:25] neg_lo:[0,1] neg_hi:[0,1]
	v_pk_add_f32 v[22:23], v[42:43], v[50:51] neg_lo:[0,1] neg_hi:[0,1]
	v_mul_u32_u24_e32 v24, 25, v57
	v_mul_u32_u24_e32 v25, 25, v54
	v_add_lshl_u32 v3, v3, v60, 8
	v_pk_fma_f32 v[18:19], v[18:19], 0.5, v[108:109] op_sel_hi:[1,0,1] neg_lo:[1,0,0] neg_hi:[1,0,0]
	v_add_lshl_u32 v24, v24, v58, 8
	v_add_lshl_u32 v25, v25, v55, 8
	v_pk_add_f32 v[20:21], v[20:21], v[22:23]
	v_pk_mul_f32 v[22:23], v[68:69], s[2:3] op_sel_hi:[1,0]
	v_add3_u32 v36, 0, v3, v31
	v_pk_add_f32 v[78:79], v[78:79], v[34:35]
	v_mov_b32_e32 v7, v33
	v_add3_u32 v33, 0, v24, v31
	v_add3_u32 v31, 0, v25, v31
	v_pk_add_f32 v[24:25], v[18:19], v[22:23] op_sel:[0,1] op_sel_hi:[1,0]
	v_pk_add_f32 v[18:19], v[18:19], v[22:23] op_sel:[0,1] op_sel_hi:[1,0] neg_lo:[0,1] neg_hi:[0,1]
	v_pk_mul_f32 v[34:35], v[66:67], s[6:7] op_sel_hi:[1,0]
	v_mov_b32_e32 v81, v65
	v_pk_add_f32 v[18:19], v[18:19], v[34:35] op_sel:[0,1] op_sel_hi:[1,0]
	v_pk_add_f32 v[24:25], v[24:25], v[34:35] op_sel:[0,1] op_sel_hi:[1,0] neg_lo:[0,1] neg_hi:[0,1]
	v_mov_b32_e32 v35, v19
	v_mov_b32_e32 v34, v24
	;; [unrolled: 1-line block ×3, first 2 shown]
	v_pk_fma_f32 v[34:35], v[20:21], s[10:11], v[34:35] op_sel_hi:[1,0,1]
	v_pk_fma_f32 v[18:19], v[20:21], s[10:11], v[18:19] op_sel_hi:[1,0,1]
	v_add_u32_e32 v20, 0x800, v36
	v_mov_b32_e32 v65, v75
	v_pk_add_f32 v[78:79], v[78:79], v[42:43]
	v_mov_b32_e32 v80, v74
	v_mov_b32_e32 v17, v45
	;; [unrolled: 1-line block ×3, first 2 shown]
	ds_write2_b64 v20, v[34:35], v[18:19] offset0:64 offset1:224
	v_pk_fma_f32 v[18:19], v[48:49], s[10:11], v[64:65] op_sel_hi:[1,0,1]
	v_pk_add_f32 v[78:79], v[78:79], v[50:51]
	v_pk_fma_f32 v[80:81], v[48:49], s[10:11], v[80:81] op_sel_hi:[1,0,1]
	ds_write_b64 v36, v[18:19] offset:5120
	v_pk_add_f32 v[18:19], v[6:7], v[16:17]
	v_pk_add_f32 v[20:21], v[12:13], v[8:9] neg_lo:[0,1] neg_hi:[0,1]
	ds_write2_b64 v36, v[78:79], v[80:81] offset1:160
	v_mov_b32_e32 v3, v37
	v_pk_fma_f32 v[18:19], v[18:19], 0.5, v[96:97] op_sel_hi:[1,0,1] neg_lo:[1,0,0] neg_hi:[1,0,0]
	v_pk_mul_f32 v[34:35], v[20:21], s[2:3] op_sel_hi:[1,0]
	v_pk_add_f32 v[36:37], v[6:7], v[16:17] neg_lo:[0,1] neg_hi:[0,1]
	v_pk_add_f32 v[42:43], v[12:13], v[6:7] neg_lo:[0,1] neg_hi:[0,1]
	;; [unrolled: 1-line block ×3, first 2 shown]
	v_pk_add_f32 v[24:25], v[96:97], v[12:13]
	v_pk_mul_f32 v[40:41], v[36:37], s[6:7] op_sel_hi:[1,0]
	v_pk_add_f32 v[42:43], v[42:43], v[44:45]
	v_pk_add_f32 v[44:45], v[18:19], v[34:35] op_sel:[0,1] op_sel_hi:[1,0] neg_lo:[0,1] neg_hi:[0,1]
	v_pk_add_f32 v[18:19], v[18:19], v[34:35] op_sel:[0,1] op_sel_hi:[1,0]
	v_pk_add_f32 v[24:25], v[24:25], v[6:7]
	v_pk_add_f32 v[18:19], v[18:19], v[40:41] op_sel:[0,1] op_sel_hi:[1,0]
	v_pk_add_f32 v[34:35], v[44:45], v[40:41] op_sel:[0,1] op_sel_hi:[1,0] neg_lo:[0,1] neg_hi:[0,1]
	v_pk_add_f32 v[24:25], v[24:25], v[16:17]
	v_mov_b32_e32 v40, v34
	v_mov_b32_e32 v41, v19
	v_pk_add_f32 v[24:25], v[24:25], v[8:9]
	v_pk_fma_f32 v[40:41], v[42:43], s[10:11], v[40:41] op_sel_hi:[1,0,1]
	ds_write2_b64 v33, v[24:25], v[40:41] offset1:160
	v_pk_add_f32 v[24:25], v[12:13], v[8:9]
	v_pk_add_f32 v[6:7], v[6:7], v[12:13] neg_lo:[0,1] neg_hi:[0,1]
	v_pk_add_f32 v[8:9], v[16:17], v[8:9] neg_lo:[0,1] neg_hi:[0,1]
	v_pk_fma_f32 v[24:25], v[24:25], 0.5, v[96:97] op_sel_hi:[1,0,1] neg_lo:[1,0,0] neg_hi:[1,0,0]
	v_pk_add_f32 v[6:7], v[6:7], v[8:9]
	v_pk_mul_f32 v[8:9], v[36:37], s[2:3] op_sel_hi:[1,0]
	v_pk_mul_f32 v[12:13], v[20:21], s[6:7] op_sel_hi:[1,0]
	v_pk_add_f32 v[16:17], v[24:25], v[8:9] op_sel:[0,1] op_sel_hi:[1,0]
	v_pk_add_f32 v[8:9], v[24:25], v[8:9] op_sel:[0,1] op_sel_hi:[1,0] neg_lo:[0,1] neg_hi:[0,1]
	v_mov_b32_e32 v19, v35
	v_pk_add_f32 v[8:9], v[8:9], v[12:13] op_sel:[0,1] op_sel_hi:[1,0]
	v_pk_add_f32 v[12:13], v[16:17], v[12:13] op_sel:[0,1] op_sel_hi:[1,0] neg_lo:[0,1] neg_hi:[0,1]
	v_mov_b32_e32 v17, v9
	v_mov_b32_e32 v16, v12
	;; [unrolled: 1-line block ×3, first 2 shown]
	v_pk_fma_f32 v[16:17], v[6:7], s[10:11], v[16:17] op_sel_hi:[1,0,1]
	v_pk_fma_f32 v[6:7], v[6:7], s[10:11], v[8:9] op_sel_hi:[1,0,1]
	v_add_u32_e32 v8, 0x800, v33
	v_mov_b32_e32 v5, v39
	ds_write2_b64 v8, v[16:17], v[6:7] offset0:64 offset1:224
	v_pk_fma_f32 v[6:7], v[42:43], s[10:11], v[18:19] op_sel_hi:[1,0,1]
	ds_write_b64 v33, v[6:7] offset:5120
	v_pk_add_f32 v[6:7], v[10:11], v[2:3]
	v_pk_add_f32 v[8:9], v[14:15], v[4:5] neg_lo:[0,1] neg_hi:[0,1]
	v_pk_fma_f32 v[6:7], v[6:7], 0.5, v[94:95] op_sel_hi:[1,0,1] neg_lo:[1,0,0] neg_hi:[1,0,0]
	v_pk_mul_f32 v[12:13], v[8:9], s[2:3] op_sel_hi:[1,0]
	v_pk_add_f32 v[16:17], v[10:11], v[2:3] neg_lo:[0,1] neg_hi:[0,1]
	v_pk_add_f32 v[20:21], v[14:15], v[10:11] neg_lo:[0,1] neg_hi:[0,1]
	;; [unrolled: 1-line block ×3, first 2 shown]
	v_pk_add_f32 v[22:23], v[94:95], v[14:15]
	v_pk_mul_f32 v[18:19], v[16:17], s[6:7] op_sel_hi:[1,0]
	v_pk_add_f32 v[20:21], v[20:21], v[24:25]
	v_pk_add_f32 v[24:25], v[6:7], v[12:13] op_sel:[0,1] op_sel_hi:[1,0] neg_lo:[0,1] neg_hi:[0,1]
	v_pk_add_f32 v[6:7], v[6:7], v[12:13] op_sel:[0,1] op_sel_hi:[1,0]
	v_pk_add_f32 v[22:23], v[22:23], v[10:11]
	v_pk_add_f32 v[6:7], v[6:7], v[18:19] op_sel:[0,1] op_sel_hi:[1,0]
	v_pk_add_f32 v[12:13], v[24:25], v[18:19] op_sel:[0,1] op_sel_hi:[1,0] neg_lo:[0,1] neg_hi:[0,1]
	v_pk_add_f32 v[22:23], v[22:23], v[2:3]
	v_mov_b32_e32 v18, v12
	v_mov_b32_e32 v19, v7
	v_pk_add_f32 v[22:23], v[22:23], v[4:5]
	v_pk_fma_f32 v[18:19], v[20:21], s[10:11], v[18:19] op_sel_hi:[1,0,1]
	ds_write2_b64 v31, v[22:23], v[18:19] offset1:160
	v_pk_add_f32 v[18:19], v[14:15], v[4:5]
	v_pk_add_f32 v[10:11], v[10:11], v[14:15] neg_lo:[0,1] neg_hi:[0,1]
	v_pk_fma_f32 v[18:19], v[18:19], 0.5, v[94:95] op_sel_hi:[1,0,1] neg_lo:[1,0,0] neg_hi:[1,0,0]
	v_pk_add_f32 v[2:3], v[2:3], v[4:5] neg_lo:[0,1] neg_hi:[0,1]
	v_pk_mul_f32 v[4:5], v[16:17], s[2:3] op_sel_hi:[1,0]
	v_pk_add_f32 v[2:3], v[10:11], v[2:3]
	v_pk_mul_f32 v[8:9], v[8:9], s[6:7] op_sel_hi:[1,0]
	v_pk_add_f32 v[10:11], v[18:19], v[4:5] op_sel:[0,1] op_sel_hi:[1,0]
	v_pk_add_f32 v[4:5], v[18:19], v[4:5] op_sel:[0,1] op_sel_hi:[1,0] neg_lo:[0,1] neg_hi:[0,1]
	v_mov_b32_e32 v7, v13
	v_pk_add_f32 v[4:5], v[4:5], v[8:9] op_sel:[0,1] op_sel_hi:[1,0]
	v_pk_add_f32 v[8:9], v[10:11], v[8:9] op_sel:[0,1] op_sel_hi:[1,0] neg_lo:[0,1] neg_hi:[0,1]
	v_mov_b32_e32 v11, v5
	v_mov_b32_e32 v10, v8
	;; [unrolled: 1-line block ×3, first 2 shown]
	v_pk_fma_f32 v[10:11], v[2:3], s[10:11], v[10:11] op_sel_hi:[1,0,1]
	v_pk_fma_f32 v[2:3], v[2:3], s[10:11], v[4:5] op_sel_hi:[1,0,1]
	v_add_u32_e32 v4, 0x800, v31
	ds_write2_b64 v4, v[10:11], v[2:3] offset0:64 offset1:224
	v_pk_fma_f32 v[2:3], v[20:21], s[10:11], v[6:7] op_sel_hi:[1,0,1]
	ds_write_b64 v31, v[2:3] offset:5120
	s_waitcnt lgkmcnt(0)
	s_barrier
	s_and_saveexec_b64 s[16:17], s[14:15]
	s_cbranch_execz .LBB0_58
; %bb.57:
	v_mov_b32_e32 v2, 41
	v_mul_lo_u16_sdwa v2, v92, v2 dst_sel:DWORD dst_unused:UNUSED_PAD src0_sel:BYTE_0 src1_sel:DWORD
	v_lshrrev_b16_e32 v93, 10, v2
	v_mul_lo_u16_e32 v2, 25, v93
	v_sub_u16_e32 v2, v92, v2
	v_and_b32_e32 v50, 0xff, v2
	s_load_dwordx2 s[0:1], s[0:1], 0x8
	v_lshlrev_b32_e32 v2, 5, v50
	global_load_dwordx4 v[22:25], v2, s[12:13] offset:160
	global_load_dwordx4 v[18:21], v2, s[12:13] offset:176
	v_add_u32_e32 v2, 0x64, v50
	v_mov_b32_e32 v31, 3
	v_mul_lo_u32 v2, v30, v2
	v_lshlrev_b32_sdwa v3, v31, v2 dst_sel:DWORD dst_unused:UNUSED_PAD src0_sel:DWORD src1_sel:BYTE_0
	v_lshlrev_b32_sdwa v2, v31, v2 dst_sel:DWORD dst_unused:UNUSED_PAD src0_sel:DWORD src1_sel:BYTE_1
	s_waitcnt lgkmcnt(0)
	global_load_dwordx2 v[34:35], v2, s[0:1] offset:2048
	global_load_dwordx2 v[36:37], v3, s[0:1]
	v_add_u32_e32 v33, 0x4b, v50
	v_mul_lo_u32 v33, v30, v33
	s_movk_i32 s3, 0x140
	v_lshlrev_b32_sdwa v44, v31, v33 dst_sel:DWORD dst_unused:UNUSED_PAD src0_sel:DWORD src1_sel:BYTE_0
	ds_read2_b64 v[6:9], v61 offset0:32 offset1:192
	ds_read2_b64 v[14:17], v63 offset0:32 offset1:192
	;; [unrolled: 1-line block ×4, first 2 shown]
	ds_read_b64 v[42:43], v38
	v_add_u32_e32 v32, -10, v27
	v_lshlrev_b32_sdwa v33, v31, v33 dst_sel:DWORD dst_unused:UNUSED_PAD src0_sel:DWORD src1_sel:BYTE_1
	global_load_dwordx2 v[38:39], v44, s[0:1]
	global_load_dwordx2 v[40:41], v33, s[0:1] offset:2048
	v_cmp_gt_u32_e32 vcc, s3, v0
	v_mov_b32_e32 v33, 0
	s_waitcnt vmcnt(4)
	v_mov_b32_e32 v78, v21
	v_cndmask_b32_e32 v63, v32, v91, vcc
	v_lshlrev_b32_e32 v32, 2, v63
	v_lshl_add_u64 v[44:45], v[32:33], 3, s[12:13]
	v_add_u32_e32 v32, 50, v50
	v_mul_lo_u32 v32, v30, v32
	v_lshlrev_b32_sdwa v51, v31, v32 dst_sel:DWORD dst_unused:UNUSED_PAD src0_sel:DWORD src1_sel:BYTE_0
	v_lshlrev_b32_sdwa v32, v31, v32 dst_sel:DWORD dst_unused:UNUSED_PAD src0_sel:DWORD src1_sel:BYTE_1
	global_load_dwordx2 v[46:47], v51, s[0:1]
	global_load_dwordx2 v[48:49], v32, s[0:1] offset:2048
	global_load_dwordx4 v[64:67], v[44:45], off offset:176
	global_load_dwordx4 v[58:61], v[44:45], off offset:160
	v_add_u32_e32 v32, 25, v50
	v_mul_lo_u32 v32, v30, v32
	v_mul_lo_u32 v44, v30, v50
	v_lshlrev_b32_sdwa v74, v31, v32 dst_sel:DWORD dst_unused:UNUSED_PAD src0_sel:DWORD src1_sel:BYTE_0
	v_lshlrev_b32_sdwa v57, v31, v44 dst_sel:DWORD dst_unused:UNUSED_PAD src0_sel:DWORD src1_sel:BYTE_0
	v_lshlrev_b32_sdwa v73, v31, v44 dst_sel:DWORD dst_unused:UNUSED_PAD src0_sel:DWORD src1_sel:BYTE_1
	v_lshlrev_b32_sdwa v32, v31, v32 dst_sel:DWORD dst_unused:UNUSED_PAD src0_sel:DWORD src1_sel:BYTE_1
	global_load_dwordx2 v[44:45], v74, s[0:1]
	global_load_dwordx2 v[50:51], v32, s[0:1] offset:2048
	global_load_dwordx2 v[54:55], v57, s[0:1]
	global_load_dwordx2 v[68:69], v73, s[0:1] offset:2048
	s_waitcnt lgkmcnt(4)
	v_pk_mul_f32 v[74:75], v[6:7], v[22:23] op_sel:[0,1]
	v_mov_b32_e32 v32, v25
	s_waitcnt lgkmcnt(1)
	v_pk_mul_f32 v[80:81], v[2:3], v[18:19] op_sel:[0,1]
	v_pk_fma_f32 v[82:83], v[6:7], v[22:23], v[74:75] op_sel:[0,0,1] op_sel_hi:[1,1,0]
	v_pk_fma_f32 v[6:7], v[6:7], v[22:23], v[74:75] op_sel:[0,0,1] op_sel_hi:[1,0,0] neg_lo:[0,0,1] neg_hi:[0,0,1]
	v_pk_mul_f32 v[22:23], v[16:17], v[32:33] op_sel_hi:[1,0]
	v_pk_mul_f32 v[74:75], v[12:13], v[78:79] op_sel_hi:[1,0]
	v_pk_fma_f32 v[78:79], v[2:3], v[18:19], v[80:81] op_sel:[0,0,1] op_sel_hi:[1,1,0]
	v_pk_fma_f32 v[2:3], v[2:3], v[18:19], v[80:81] op_sel:[0,0,1] op_sel_hi:[1,0,0] neg_lo:[0,0,1] neg_hi:[0,0,1]
	v_mov_b32_e32 v83, v7
	v_pk_fma_f32 v[18:19], v[16:17], v[24:25], v[22:23] op_sel:[0,0,1] op_sel_hi:[1,1,0]
	v_pk_fma_f32 v[6:7], v[16:17], v[24:25], v[22:23] op_sel:[0,0,1] op_sel_hi:[1,0,0] neg_lo:[0,0,1] neg_hi:[0,0,1]
	v_pk_fma_f32 v[16:17], v[12:13], v[20:21], v[74:75] op_sel:[0,0,1] op_sel_hi:[1,1,0]
	v_pk_fma_f32 v[12:13], v[12:13], v[20:21], v[74:75] op_sel:[0,0,1] op_sel_hi:[1,0,0] neg_lo:[0,0,1] neg_hi:[0,0,1]
	v_mov_b32_e32 v79, v3
	s_waitcnt vmcnt(10)
	v_pk_mul_f32 v[20:21], v[36:37], v[34:35] op_sel:[1,0] op_sel_hi:[0,1]
	v_mov_b32_e32 v19, v7
	v_mov_b32_e32 v17, v13
	;; [unrolled: 1-line block ×4, first 2 shown]
	v_pk_add_f32 v[12:13], v[82:83], v[18:19] neg_lo:[0,1] neg_hi:[0,1]
	v_pk_add_f32 v[20:21], v[16:17], v[78:79] neg_lo:[0,1] neg_hi:[0,1]
	v_pk_add_f32 v[22:23], v[18:19], v[78:79]
	v_pk_mul_f32 v[2:3], v[36:37], v[2:3] op_sel:[1,0] op_sel_hi:[0,1]
	v_pk_add_f32 v[24:25], v[82:83], v[16:17] neg_lo:[0,1] neg_hi:[0,1]
	v_pk_add_f32 v[12:13], v[12:13], v[20:21]
	s_waitcnt lgkmcnt(0)
	v_pk_fma_f32 v[20:21], v[22:23], 0.5, v[42:43] op_sel_hi:[1,0,1] neg_lo:[1,0,0] neg_hi:[1,0,0]
	v_pk_add_f32 v[74:75], v[18:19], v[78:79] neg_lo:[0,1] neg_hi:[0,1]
	v_pk_fma_f32 v[80:81], v[36:37], v[34:35], v[2:3] neg_lo:[0,0,1] neg_hi:[0,0,1]
	v_pk_fma_f32 v[2:3], v[36:37], v[34:35], v[6:7] op_sel:[1,0,0] op_sel_hi:[0,1,1]
	v_pk_add_f32 v[6:7], v[18:19], v[82:83] neg_lo:[0,1] neg_hi:[0,1]
	v_pk_add_f32 v[34:35], v[78:79], v[16:17] neg_lo:[0,1] neg_hi:[0,1]
	v_pk_fma_f32 v[86:87], v[24:25], s[2:3], v[20:21] op_sel:[1,0,0] op_sel_hi:[0,0,1]
	v_pk_fma_f32 v[20:21], v[24:25], s[2:3], v[20:21] op_sel:[1,0,0] op_sel_hi:[0,0,1] neg_lo:[1,0,0] neg_hi:[1,0,0]
	v_pk_add_f32 v[34:35], v[6:7], v[34:35]
	v_pk_fma_f32 v[6:7], v[74:75], s[6:7], v[86:87] op_sel:[1,0,0] op_sel_hi:[0,0,1]
	v_pk_fma_f32 v[36:37], v[74:75], s[6:7], v[20:21] op_sel:[1,0,0] op_sel_hi:[0,0,1] neg_lo:[1,0,0] neg_hi:[1,0,0]
	v_mov_b32_e32 v7, v37
	v_pk_fma_f32 v[6:7], v[12:13], s[10:11], v[6:7] op_sel_hi:[1,0,1]
	v_pk_add_f32 v[36:37], v[82:83], v[16:17]
	v_pk_mul_f32 v[84:85], v[12:13], s[10:11] op_sel_hi:[1,0]
	v_pk_mul_f32 v[12:13], v[6:7], v[2:3] op_sel_hi:[1,0]
	v_pk_fma_f32 v[36:37], v[36:37], 0.5, v[42:43] op_sel_hi:[1,0,1] neg_lo:[1,0,0] neg_hi:[1,0,0]
	v_pk_mul_f32 v[22:23], v[74:75], s[6:7] op_sel:[1,0] op_sel_hi:[0,0]
	v_pk_fma_f32 v[2:3], v[6:7], v[80:81], v[12:13] op_sel:[0,0,1] op_sel_hi:[1,1,0]
	v_pk_fma_f32 v[6:7], v[6:7], v[80:81], v[12:13] op_sel:[0,0,1] op_sel_hi:[1,0,0] neg_lo:[0,0,1] neg_hi:[0,0,1]
	v_pk_fma_f32 v[80:81], v[74:75], s[2:3], v[36:37] op_sel:[1,0,0] op_sel_hi:[0,0,1] neg_lo:[1,0,0] neg_hi:[1,0,0]
	v_pk_fma_f32 v[74:75], v[74:75], s[2:3], v[36:37] op_sel:[1,0,0] op_sel_hi:[0,0,1]
	v_pk_mul_f32 v[88:89], v[24:25], s[6:7] op_sel:[1,0] op_sel_hi:[0,0]
	v_pk_fma_f32 v[36:37], v[24:25], s[6:7], v[80:81] op_sel:[1,0,0] op_sel_hi:[0,0,1]
	v_pk_fma_f32 v[24:25], v[24:25], s[6:7], v[74:75] op_sel:[1,0,0] op_sel_hi:[0,0,1] neg_lo:[1,0,0] neg_hi:[1,0,0]
	v_mov_b32_e32 v37, v25
	s_waitcnt vmcnt(8)
	v_mov_b32_e32 v6, v41
	v_pk_mul_f32 v[12:13], v[34:35], s[10:11] op_sel_hi:[1,0]
	v_pk_fma_f32 v[24:25], v[34:35], s[10:11], v[36:37] op_sel_hi:[1,0,1]
	v_pk_mul_f32 v[34:35], v[38:39], v[6:7] op_sel:[1,0] op_sel_hi:[0,1]
	v_pk_fma_f32 v[36:37], v[38:39], v[40:41], v[34:35] neg_lo:[0,0,1] neg_hi:[0,0,1]
	v_pk_mul_f32 v[34:35], v[38:39], v[40:41] op_sel:[1,0] op_sel_hi:[0,1]
	v_add_f32_e32 v3, v89, v81
	v_mov_b32_e32 v6, v35
	v_add_f32_e32 v3, v13, v3
	v_sub_f32_e32 v13, v74, v88
	v_pk_fma_f32 v[34:35], v[38:39], v[40:41], v[6:7] op_sel:[1,0,0] op_sel_hi:[0,1,1]
	v_add_f32_e32 v12, v12, v13
	v_pk_mul_f32 v[38:39], v[24:25], v[34:35] op_sel_hi:[1,0]
	s_waitcnt vmcnt(6)
	v_mul_f32_e32 v13, v46, v49
	v_mul_f32_e32 v6, v47, v49
	v_fmac_f32_e32 v13, v47, v48
	v_pk_fma_f32 v[34:35], v[24:25], v[36:37], v[38:39] op_sel:[0,0,1] op_sel_hi:[1,1,0]
	v_pk_fma_f32 v[36:37], v[24:25], v[36:37], v[38:39] op_sel:[0,0,1] op_sel_hi:[1,0,0] neg_lo:[0,0,1] neg_hi:[0,0,1]
	v_fma_f32 v6, v46, v48, -v6
	v_mul_f32_e32 v38, v3, v13
	v_mul_f32_e32 v21, v12, v13
	v_fmac_f32_e32 v38, v12, v6
	v_sub_f32_e32 v12, v20, v22
	s_waitcnt vmcnt(2)
	v_mul_f32_e32 v13, v44, v51
	v_fma_f32 v39, v3, v6, -v21
	v_add_f32_e32 v3, v23, v87
	v_mul_f32_e32 v6, v45, v51
	v_add_f32_e32 v12, v84, v12
	v_fmac_f32_e32 v13, v45, v50
	v_add_f32_e32 v3, v85, v3
	v_fma_f32 v6, v44, v50, -v6
	v_mul_f32_e32 v20, v12, v13
	v_fma_f32 v41, v3, v6, -v20
	v_mul_f32_e32 v40, v3, v13
	v_add_u32_e32 v3, 0x64, v63
	v_mul_lo_u32 v3, v30, v3
	v_fmac_f32_e32 v40, v12, v6
	v_lshlrev_b32_sdwa v6, v31, v3 dst_sel:DWORD dst_unused:UNUSED_PAD src0_sel:DWORD src1_sel:BYTE_0
	v_lshlrev_b32_sdwa v3, v31, v3 dst_sel:DWORD dst_unused:UNUSED_PAD src0_sel:DWORD src1_sel:BYTE_1
	global_load_dwordx2 v[46:47], v6, s[0:1]
	global_load_dwordx2 v[48:49], v3, s[0:1] offset:2048
	v_pk_add_f32 v[12:13], v[42:43], v[82:83]
	s_waitcnt vmcnt(2)
	v_mov_b32_e32 v6, v69
	v_pk_add_f32 v[12:13], v[12:13], v[18:19]
	v_add_u32_e32 v3, 0x4b, v63
	v_pk_add_f32 v[12:13], v[12:13], v[78:79]
	v_mul_lo_u32 v3, v30, v3
	v_pk_add_f32 v[12:13], v[12:13], v[16:17]
	v_pk_mul_f32 v[16:17], v[54:55], v[6:7] op_sel:[1,0] op_sel_hi:[0,1]
	v_pk_fma_f32 v[20:21], v[54:55], v[68:69], v[16:17] neg_lo:[0,0,1] neg_hi:[0,0,1]
	v_pk_mul_f32 v[16:17], v[54:55], v[68:69] op_sel:[1,0] op_sel_hi:[0,1]
	v_mov_b32_e32 v6, v17
	v_pk_fma_f32 v[22:23], v[54:55], v[68:69], v[6:7] op_sel:[1,0,0] op_sel_hi:[0,1,1]
	v_lshlrev_b32_sdwa v6, v31, v3 dst_sel:DWORD dst_unused:UNUSED_PAD src0_sel:DWORD src1_sel:BYTE_0
	ds_read2_b64 v[16:19], v53 offset0:32 offset1:192
	v_lshlrev_b32_sdwa v3, v31, v3 dst_sel:DWORD dst_unused:UNUSED_PAD src0_sel:DWORD src1_sel:BYTE_1
	global_load_dwordx2 v[50:51], v6, s[0:1]
	global_load_dwordx2 v[54:55], v3, s[0:1] offset:2048
	v_pk_mul_f32 v[22:23], v[12:13], v[22:23] op_sel_hi:[1,0]
	v_mov_b32_e32 v6, v61
	v_pk_fma_f32 v[42:43], v[12:13], v[20:21], v[22:23] op_sel:[0,0,1] op_sel_hi:[1,1,0]
	v_pk_fma_f32 v[44:45], v[12:13], v[20:21], v[22:23] op_sel:[0,0,1] op_sel_hi:[1,0,0] neg_lo:[0,0,1] neg_hi:[0,0,1]
	s_waitcnt lgkmcnt(0)
	v_pk_mul_f32 v[20:21], v[18:19], v[58:59] op_sel:[0,1]
	v_add_u32_e32 v3, 50, v63
	v_pk_fma_f32 v[12:13], v[18:19], v[58:59], v[20:21] op_sel:[0,0,1] op_sel_hi:[1,1,0]
	v_pk_fma_f32 v[18:19], v[18:19], v[58:59], v[20:21] op_sel:[0,0,1] op_sel_hi:[1,0,0] neg_lo:[0,0,1] neg_hi:[0,0,1]
	v_pk_mul_f32 v[20:21], v[14:15], v[6:7] op_sel_hi:[1,0]
	v_mov_b32_e32 v6, v67
	v_pk_mul_f32 v[22:23], v[10:11], v[6:7] op_sel_hi:[1,0]
	v_mov_b32_e32 v13, v19
	v_pk_fma_f32 v[18:19], v[14:15], v[60:61], v[20:21] op_sel:[0,0,1] op_sel_hi:[1,1,0]
	v_pk_fma_f32 v[14:15], v[14:15], v[60:61], v[20:21] op_sel:[0,0,1] op_sel_hi:[1,0,0] neg_lo:[0,0,1] neg_hi:[0,0,1]
	v_pk_fma_f32 v[20:21], v[10:11], v[66:67], v[22:23] op_sel:[0,0,1] op_sel_hi:[1,1,0]
	v_pk_fma_f32 v[10:11], v[10:11], v[66:67], v[22:23] op_sel:[0,0,1] op_sel_hi:[1,0,0] neg_lo:[0,0,1] neg_hi:[0,0,1]
	ds_read2_b64 v[22:25], v52 offset0:32 offset1:192
	v_mul_lo_u32 v3, v30, v3
	v_lshlrev_b32_sdwa v6, v31, v3 dst_sel:DWORD dst_unused:UNUSED_PAD src0_sel:DWORD src1_sel:BYTE_0
	v_lshlrev_b32_sdwa v3, v31, v3 dst_sel:DWORD dst_unused:UNUSED_PAD src0_sel:DWORD src1_sel:BYTE_1
	global_load_dwordx2 v[52:53], v6, s[0:1]
	global_load_dwordx2 v[58:59], v3, s[0:1] offset:2048
	v_add_u32_e32 v3, 25, v63
	v_mul_lo_u32 v3, v30, v3
	s_waitcnt lgkmcnt(0)
	v_pk_mul_f32 v[60:61], v[24:25], v[64:65] op_sel:[0,1]
	v_lshlrev_b32_sdwa v6, v31, v3 dst_sel:DWORD dst_unused:UNUSED_PAD src0_sel:DWORD src1_sel:BYTE_0
	v_mov_b32_e32 v21, v11
	v_pk_fma_f32 v[10:11], v[24:25], v[64:65], v[60:61] op_sel:[0,0,1] op_sel_hi:[1,1,0]
	v_pk_fma_f32 v[24:25], v[24:25], v[64:65], v[60:61] op_sel:[0,0,1] op_sel_hi:[1,0,0] neg_lo:[0,0,1] neg_hi:[0,0,1]
	v_lshlrev_b32_sdwa v3, v31, v3 dst_sel:DWORD dst_unused:UNUSED_PAD src0_sel:DWORD src1_sel:BYTE_1
	global_load_dwordx2 v[64:65], v6, s[0:1]
	global_load_dwordx2 v[66:67], v3, s[0:1] offset:2048
	ds_read_b64 v[56:57], v56
	v_mov_b32_e32 v19, v15
	v_mov_b32_e32 v11, v25
	v_mul_lo_u32 v3, v30, v63
	v_pk_add_f32 v[14:15], v[12:13], v[18:19] neg_lo:[0,1] neg_hi:[0,1]
	v_pk_add_f32 v[24:25], v[20:21], v[10:11] neg_lo:[0,1] neg_hi:[0,1]
	v_pk_add_f32 v[60:61], v[18:19], v[10:11]
	v_lshlrev_b32_sdwa v6, v31, v3 dst_sel:DWORD dst_unused:UNUSED_PAD src0_sel:DWORD src1_sel:BYTE_0
	v_pk_add_f32 v[24:25], v[14:15], v[24:25]
	ds_read_b64 v[14:15], v62
	s_waitcnt lgkmcnt(1)
	v_pk_fma_f32 v[60:61], v[60:61], 0.5, v[56:57] op_sel_hi:[1,0,1] neg_lo:[1,0,0] neg_hi:[1,0,0]
	v_pk_add_f32 v[74:75], v[12:13], v[20:21] neg_lo:[0,1] neg_hi:[0,1]
	v_lshlrev_b32_sdwa v3, v31, v3 dst_sel:DWORD dst_unused:UNUSED_PAD src0_sel:DWORD src1_sel:BYTE_1
	global_load_dwordx2 v[96:97], v6, s[0:1]
	global_load_dwordx2 v[98:99], v3, s[0:1] offset:2048
	v_pk_fma_f32 v[86:87], v[74:75], s[2:3], v[60:61] op_sel:[1,0,0] op_sel_hi:[0,0,1]
	v_pk_fma_f32 v[88:89], v[74:75], s[2:3], v[60:61] op_sel:[1,0,0] op_sel_hi:[0,0,1] neg_lo:[1,0,0] neg_hi:[1,0,0]
	s_movk_i32 s3, 0x1e0
	v_pk_add_f32 v[60:61], v[18:19], v[10:11] neg_lo:[0,1] neg_hi:[0,1]
	v_add_u32_e32 v3, -15, v27
	v_cmp_gt_u32_e32 vcc, s3, v0
	v_pk_fma_f32 v[78:79], v[60:61], s[6:7], v[86:87] op_sel:[1,0,0] op_sel_hi:[0,0,1]
	v_pk_fma_f32 v[80:81], v[60:61], s[6:7], v[88:89] op_sel:[1,0,0] op_sel_hi:[0,0,1] neg_lo:[1,0,0] neg_hi:[1,0,0]
	v_cndmask_b32_e32 v3, v3, v90, vcc
	v_mov_b32_e32 v79, v81
	v_lshlrev_b32_e32 v32, 2, v3
	v_pk_mul_f32 v[68:69], v[24:25], s[10:11] op_sel_hi:[1,0]
	v_pk_fma_f32 v[62:63], v[24:25], s[10:11], v[78:79] op_sel_hi:[1,0,1]
	v_lshl_add_u64 v[24:25], v[32:33], 3, s[12:13]
	global_load_dwordx4 v[78:81], v[24:25], off offset:176
	global_load_dwordx4 v[82:85], v[24:25], off offset:160
	v_pk_mul_f32 v[94:95], v[60:61], s[6:7] op_sel:[1,0] op_sel_hi:[0,0]
	v_pk_mul_f32 v[106:107], v[74:75], s[6:7] op_sel:[1,0] op_sel_hi:[0,0]
	v_mov_b32_e32 v43, v45
	s_waitcnt vmcnt(10)
	v_mov_b32_e32 v6, v49
	v_pk_mul_f32 v[24:25], v[46:47], v[6:7] op_sel:[1,0] op_sel_hi:[0,1]
	v_pk_fma_f32 v[100:101], v[46:47], v[48:49], v[24:25] neg_lo:[0,0,1] neg_hi:[0,0,1]
	v_pk_mul_f32 v[24:25], v[46:47], v[48:49] op_sel:[1,0] op_sel_hi:[0,1]
	v_mov_b32_e32 v6, v25
	v_pk_fma_f32 v[24:25], v[46:47], v[48:49], v[6:7] op_sel:[1,0,0] op_sel_hi:[0,1,1]
	v_pk_mul_f32 v[46:47], v[62:63], v[24:25] op_sel_hi:[1,0]
	v_pk_add_f32 v[48:49], v[18:19], v[12:13] neg_lo:[0,1] neg_hi:[0,1]
	v_pk_fma_f32 v[24:25], v[62:63], v[100:101], v[46:47] op_sel:[0,0,1] op_sel_hi:[1,1,0]
	v_pk_fma_f32 v[46:47], v[62:63], v[100:101], v[46:47] op_sel:[0,0,1] op_sel_hi:[1,0,0] neg_lo:[0,0,1] neg_hi:[0,0,1]
	v_pk_add_f32 v[62:63], v[10:11], v[20:21] neg_lo:[0,1] neg_hi:[0,1]
	s_waitcnt vmcnt(8)
	v_mov_b32_e32 v6, v55
	v_pk_add_f32 v[48:49], v[48:49], v[62:63]
	v_pk_add_f32 v[62:63], v[12:13], v[20:21]
	v_pk_mul_f32 v[100:101], v[48:49], s[10:11] op_sel_hi:[1,0]
	v_pk_fma_f32 v[62:63], v[62:63], 0.5, v[56:57] op_sel_hi:[1,0,1] neg_lo:[1,0,0] neg_hi:[1,0,0]
	v_pk_add_f32 v[12:13], v[56:57], v[12:13]
	v_pk_fma_f32 v[102:103], v[60:61], s[2:3], v[62:63] op_sel:[1,0,0] op_sel_hi:[0,0,1] neg_lo:[1,0,0] neg_hi:[1,0,0]
	v_pk_fma_f32 v[104:105], v[60:61], s[2:3], v[62:63] op_sel:[1,0,0] op_sel_hi:[0,0,1]
	v_pk_fma_f32 v[60:61], v[74:75], s[6:7], v[102:103] op_sel:[1,0,0] op_sel_hi:[0,0,1]
	v_pk_fma_f32 v[62:63], v[74:75], s[6:7], v[104:105] op_sel:[1,0,0] op_sel_hi:[0,0,1] neg_lo:[1,0,0] neg_hi:[1,0,0]
	v_mov_b32_e32 v61, v63
	v_pk_fma_f32 v[74:75], v[48:49], s[10:11], v[60:61] op_sel_hi:[1,0,1]
	v_pk_mul_f32 v[48:49], v[50:51], v[6:7] op_sel:[1,0] op_sel_hi:[0,1]
	v_pk_fma_f32 v[108:109], v[50:51], v[54:55], v[48:49] neg_lo:[0,0,1] neg_hi:[0,0,1]
	v_pk_mul_f32 v[48:49], v[50:51], v[54:55] op_sel:[1,0] op_sel_hi:[0,1]
	v_mov_b32_e32 v6, v49
	v_pk_fma_f32 v[48:49], v[50:51], v[54:55], v[6:7] op_sel:[1,0,0] op_sel_hi:[0,1,1]
	v_add_u32_e32 v6, 0x64, v3
	v_mul_lo_u32 v6, v30, v6
	v_lshlrev_b32_sdwa v25, v31, v6 dst_sel:DWORD dst_unused:UNUSED_PAD src0_sel:DWORD src1_sel:BYTE_0
	v_lshlrev_b32_sdwa v6, v31, v6 dst_sel:DWORD dst_unused:UNUSED_PAD src0_sel:DWORD src1_sel:BYTE_1
	global_load_dwordx2 v[60:61], v25, s[0:1]
	global_load_dwordx2 v[62:63], v6, s[0:1] offset:2048
	v_add_f32_e32 v6, v107, v103
	v_sub_f32_e32 v32, v104, v106
	s_waitcnt vmcnt(8)
	v_mul_f32_e32 v35, v52, v59
	v_add_f32_e32 v6, v101, v6
	v_mul_f32_e32 v25, v53, v59
	v_add_f32_e32 v32, v100, v32
	v_fmac_f32_e32 v35, v53, v58
	v_fma_f32 v25, v52, v58, -v25
	v_mul_f32_e32 v36, v32, v35
	v_mul_f32_e32 v52, v6, v35
	v_fma_f32 v53, v6, v25, -v36
	v_fmac_f32_e32 v52, v32, v25
	v_add_f32_e32 v6, v95, v87
	v_sub_f32_e32 v25, v88, v94
	s_waitcnt vmcnt(6)
	v_mul_f32_e32 v35, v64, v67
	v_add_f32_e32 v32, v69, v6
	v_mul_f32_e32 v6, v65, v67
	v_add_f32_e32 v25, v68, v25
	v_fmac_f32_e32 v35, v65, v66
	v_fma_f32 v6, v64, v66, -v6
	v_mul_f32_e32 v36, v25, v35
	v_fma_f32 v55, v32, v6, -v36
	v_mul_f32_e32 v54, v32, v35
	v_add_u32_e32 v32, 0x4b, v3
	v_mul_lo_u32 v32, v30, v32
	v_pk_mul_f32 v[50:51], v[74:75], v[48:49] op_sel_hi:[1,0]
	v_lshlrev_b32_sdwa v35, v31, v32 dst_sel:DWORD dst_unused:UNUSED_PAD src0_sel:DWORD src1_sel:BYTE_0
	v_pk_fma_f32 v[48:49], v[74:75], v[108:109], v[50:51] op_sel:[0,0,1] op_sel_hi:[1,1,0]
	v_pk_fma_f32 v[50:51], v[74:75], v[108:109], v[50:51] op_sel:[0,0,1] op_sel_hi:[1,0,0] neg_lo:[0,0,1] neg_hi:[0,0,1]
	v_lshlrev_b32_sdwa v32, v31, v32 dst_sel:DWORD dst_unused:UNUSED_PAD src0_sel:DWORD src1_sel:BYTE_1
	global_load_dwordx2 v[64:65], v35, s[0:1]
	global_load_dwordx2 v[74:75], v32, s[0:1] offset:2048
	v_pk_add_f32 v[12:13], v[12:13], v[18:19]
	s_waitcnt vmcnt(6)
	v_pk_mul_f32 v[18:19], v[96:97], v[98:99] op_sel:[1,0] op_sel_hi:[0,1]
	v_pk_add_f32 v[10:11], v[12:13], v[10:11]
	v_mov_b32_e32 v12, v99
	v_mov_b32_e32 v18, v19
	v_pk_add_f32 v[10:11], v[10:11], v[20:21]
	v_pk_mul_f32 v[12:13], v[96:97], v[12:13] op_sel:[1,0] op_sel_hi:[0,1]
	v_pk_fma_f32 v[18:19], v[96:97], v[98:99], v[18:19] op_sel:[1,0,0] op_sel_hi:[0,1,1]
	v_pk_fma_f32 v[12:13], v[96:97], v[98:99], v[12:13] neg_lo:[0,0,1] neg_hi:[0,0,1]
	v_pk_mul_f32 v[18:19], v[10:11], v[18:19] op_sel_hi:[1,0]
	ds_read_b64 v[72:73], v72
	v_pk_fma_f32 v[56:57], v[10:11], v[12:13], v[18:19] op_sel:[0,0,1] op_sel_hi:[1,1,0]
	v_pk_fma_f32 v[58:59], v[10:11], v[12:13], v[18:19] op_sel:[0,0,1] op_sel_hi:[1,0,0] neg_lo:[0,0,1] neg_hi:[0,0,1]
	ds_read2_b64 v[10:13], v70 offset0:32 offset1:192
	s_waitcnt vmcnt(4)
	v_pk_mul_f32 v[18:19], v[16:17], v[82:83] op_sel:[0,1]
	v_fmac_f32_e32 v54, v25, v6
	v_pk_fma_f32 v[68:69], v[16:17], v[82:83], v[18:19] op_sel:[0,0,1] op_sel_hi:[1,1,0]
	v_pk_fma_f32 v[16:17], v[16:17], v[82:83], v[18:19] op_sel:[0,0,1] op_sel_hi:[1,0,0] neg_lo:[0,0,1] neg_hi:[0,0,1]
	ds_read2_b64 v[18:21], v71 offset0:32 offset1:192
	v_mov_b32_e32 v16, v85
	s_waitcnt lgkmcnt(1)
	v_pk_mul_f32 v[66:67], v[12:13], v[16:17] op_sel_hi:[1,0]
	v_mov_b32_e32 v69, v17
	v_pk_fma_f32 v[16:17], v[12:13], v[84:85], v[66:67] op_sel:[0,0,1] op_sel_hi:[1,1,0]
	v_pk_fma_f32 v[12:13], v[12:13], v[84:85], v[66:67] op_sel:[0,0,1] op_sel_hi:[1,0,0] neg_lo:[0,0,1] neg_hi:[0,0,1]
	v_mov_b32_e32 v57, v59
	v_mov_b32_e32 v12, v81
	s_waitcnt lgkmcnt(0)
	v_pk_mul_f32 v[70:71], v[20:21], v[12:13] op_sel_hi:[1,0]
	v_mov_b32_e32 v17, v13
	v_pk_fma_f32 v[12:13], v[20:21], v[80:81], v[70:71] op_sel:[0,0,1] op_sel_hi:[1,1,0]
	v_pk_fma_f32 v[20:21], v[20:21], v[80:81], v[70:71] op_sel:[0,0,1] op_sel_hi:[1,0,0] neg_lo:[0,0,1] neg_hi:[0,0,1]
	v_pk_add_f32 v[66:67], v[68:69], v[16:17] neg_lo:[0,1] neg_hi:[0,1]
	v_mov_b32_e32 v13, v21
	v_pk_mul_f32 v[20:21], v[22:23], v[78:79] op_sel:[0,1]
	v_mov_b32_e32 v49, v51
	v_pk_fma_f32 v[70:71], v[22:23], v[78:79], v[20:21] op_sel:[0,0,1] op_sel_hi:[1,1,0]
	v_pk_fma_f32 v[20:21], v[22:23], v[78:79], v[20:21] op_sel:[0,0,1] op_sel_hi:[1,0,0] neg_lo:[0,0,1] neg_hi:[0,0,1]
	v_pk_add_f32 v[78:79], v[68:69], v[12:13] neg_lo:[0,1] neg_hi:[0,1]
	v_mov_b32_e32 v71, v21
	v_pk_add_f32 v[20:21], v[12:13], v[70:71] neg_lo:[0,1] neg_hi:[0,1]
	v_pk_add_f32 v[102:103], v[16:17], v[70:71] neg_lo:[0,1] neg_hi:[0,1]
	v_pk_add_f32 v[66:67], v[66:67], v[20:21]
	v_pk_add_f32 v[20:21], v[16:17], v[70:71]
	v_mov_b32_e32 v35, v37
	v_pk_fma_f32 v[20:21], v[20:21], 0.5, v[14:15] op_sel_hi:[1,0,1] neg_lo:[1,0,0] neg_hi:[1,0,0]
	s_nop 0
	v_pk_fma_f32 v[98:99], v[78:79], s[2:3], v[20:21] op_sel:[1,0,0] op_sel_hi:[0,0,1]
	v_pk_fma_f32 v[100:101], v[78:79], s[2:3], v[20:21] op_sel:[1,0,0] op_sel_hi:[0,0,1] neg_lo:[1,0,0] neg_hi:[1,0,0]
	v_pk_fma_f32 v[20:21], v[102:103], s[6:7], v[98:99] op_sel:[1,0,0] op_sel_hi:[0,0,1]
	v_pk_fma_f32 v[22:23], v[102:103], s[6:7], v[100:101] op_sel:[1,0,0] op_sel_hi:[0,0,1] neg_lo:[1,0,0] neg_hi:[1,0,0]
	v_mov_b32_e32 v21, v23
	v_pk_fma_f32 v[22:23], v[66:67], s[10:11], v[20:21] op_sel_hi:[1,0,1]
	s_waitcnt vmcnt(2)
	v_mov_b32_e32 v20, v63
	v_pk_mul_f32 v[20:21], v[60:61], v[20:21] op_sel:[1,0] op_sel_hi:[0,1]
	v_pk_fma_f32 v[80:81], v[60:61], v[62:63], v[20:21] neg_lo:[0,0,1] neg_hi:[0,0,1]
	v_pk_mul_f32 v[20:21], v[60:61], v[62:63] op_sel:[1,0] op_sel_hi:[0,1]
	v_mov_b32_e32 v20, v21
	v_add_u32_e32 v21, 50, v3
	v_mul_lo_u32 v21, v30, v21
	v_lshlrev_b32_sdwa v32, v31, v21 dst_sel:DWORD dst_unused:UNUSED_PAD src0_sel:DWORD src1_sel:BYTE_0
	v_lshlrev_b32_sdwa v21, v31, v21 dst_sel:DWORD dst_unused:UNUSED_PAD src0_sel:DWORD src1_sel:BYTE_1
	global_load_dwordx2 v[82:83], v32, s[0:1]
	global_load_dwordx2 v[84:85], v21, s[0:1] offset:2048
	v_pk_fma_f32 v[20:21], v[60:61], v[62:63], v[20:21] op_sel:[1,0,0] op_sel_hi:[0,1,1]
	v_pk_mul_f32 v[60:61], v[22:23], v[20:21] op_sel_hi:[1,0]
	v_pk_add_f32 v[62:63], v[70:71], v[12:13] neg_lo:[0,1] neg_hi:[0,1]
	v_pk_fma_f32 v[20:21], v[22:23], v[80:81], v[60:61] op_sel:[0,0,1] op_sel_hi:[1,1,0]
	v_pk_fma_f32 v[22:23], v[22:23], v[80:81], v[60:61] op_sel:[0,0,1] op_sel_hi:[1,0,0] neg_lo:[0,0,1] neg_hi:[0,0,1]
	v_pk_add_f32 v[60:61], v[16:17], v[68:69] neg_lo:[0,1] neg_hi:[0,1]
	v_add_u32_e32 v21, 25, v3
	v_pk_add_f32 v[104:105], v[60:61], v[62:63]
	v_pk_add_f32 v[60:61], v[68:69], v[12:13]
	v_mul_lo_u32 v21, v30, v21
	v_pk_fma_f32 v[60:61], v[60:61], 0.5, v[14:15] op_sel_hi:[1,0,1] neg_lo:[1,0,0] neg_hi:[1,0,0]
	v_lshlrev_b32_sdwa v22, v31, v21 dst_sel:DWORD dst_unused:UNUSED_PAD src0_sel:DWORD src1_sel:BYTE_0
	v_pk_fma_f32 v[80:81], v[102:103], s[2:3], v[60:61] op_sel:[1,0,0] op_sel_hi:[0,0,1] neg_lo:[1,0,0] neg_hi:[1,0,0]
	v_pk_fma_f32 v[106:107], v[102:103], s[2:3], v[60:61] op_sel:[1,0,0] op_sel_hi:[0,0,1]
	v_pk_fma_f32 v[60:61], v[78:79], s[6:7], v[80:81] op_sel:[1,0,0] op_sel_hi:[0,0,1]
	v_pk_fma_f32 v[62:63], v[78:79], s[6:7], v[106:107] op_sel:[1,0,0] op_sel_hi:[0,0,1] neg_lo:[1,0,0] neg_hi:[1,0,0]
	v_lshlrev_b32_sdwa v21, v31, v21 dst_sel:DWORD dst_unused:UNUSED_PAD src0_sel:DWORD src1_sel:BYTE_1
	global_load_dwordx2 v[108:109], v22, s[0:1]
	global_load_dwordx2 v[110:111], v21, s[0:1] offset:2048
	v_mov_b32_e32 v61, v63
	s_waitcnt vmcnt(4)
	v_mov_b32_e32 v22, v75
	v_pk_fma_f32 v[62:63], v[104:105], s[10:11], v[60:61] op_sel_hi:[1,0,1]
	v_pk_mul_f32 v[60:61], v[64:65], v[22:23] op_sel:[1,0] op_sel_hi:[0,1]
	v_pk_fma_f32 v[86:87], v[64:65], v[74:75], v[60:61] neg_lo:[0,0,1] neg_hi:[0,0,1]
	v_pk_mul_f32 v[60:61], v[64:65], v[74:75] op_sel:[1,0] op_sel_hi:[0,1]
	v_mul_lo_u32 v3, v30, v3
	v_mov_b32_e32 v22, v61
	v_lshlrev_b32_sdwa v21, v31, v3 dst_sel:DWORD dst_unused:UNUSED_PAD src0_sel:DWORD src1_sel:BYTE_0
	v_pk_fma_f32 v[60:61], v[64:65], v[74:75], v[22:23] op_sel:[1,0,0] op_sel_hi:[0,1,1]
	v_lshlrev_b32_sdwa v3, v31, v3 dst_sel:DWORD dst_unused:UNUSED_PAD src0_sel:DWORD src1_sel:BYTE_1
	global_load_dwordx2 v[74:75], v21, s[0:1]
	global_load_dwordx2 v[112:113], v3, s[0:1] offset:2048
	s_movk_i32 s3, 0x280
	v_subrev_u32_e32 v3, 20, v27
	v_cmp_gt_u32_e32 vcc, s3, v0
	v_pk_mul_f32 v[64:65], v[62:63], v[60:61] op_sel_hi:[1,0]
	v_pk_add_f32 v[14:15], v[14:15], v[68:69]
	v_cndmask_b32_e32 v3, v3, v1, vcc
	v_lshlrev_b32_e32 v32, 2, v3
	v_pk_fma_f32 v[60:61], v[62:63], v[86:87], v[64:65] op_sel:[0,0,1] op_sel_hi:[1,1,0]
	v_pk_fma_f32 v[62:63], v[62:63], v[86:87], v[64:65] op_sel:[0,0,1] op_sel_hi:[1,0,0] neg_lo:[0,0,1] neg_hi:[0,0,1]
	v_lshl_add_u64 v[64:65], v[32:33], 3, s[12:13]
	global_load_dwordx4 v[86:89], v[64:65], off offset:160
	global_load_dwordx4 v[94:97], v[64:65], off offset:176
	v_add_u32_e32 v22, 0x64, v3
	v_mul_lo_u32 v22, v30, v22
	v_pk_mul_f32 v[64:65], v[78:79], s[6:7] op_sel:[1,0] op_sel_hi:[0,0]
	v_lshlrev_b32_sdwa v25, v31, v22 dst_sel:DWORD dst_unused:UNUSED_PAD src0_sel:DWORD src1_sel:BYTE_0
	v_lshlrev_b32_sdwa v22, v31, v22 dst_sel:DWORD dst_unused:UNUSED_PAD src0_sel:DWORD src1_sel:BYTE_1
	v_add_f32_e32 v6, v65, v81
	v_sub_f32_e32 v21, v106, v64
	global_load_dwordx2 v[78:79], v22, s[0:1] offset:2048
	global_load_dwordx2 v[80:81], v25, s[0:1]
	v_pk_mul_f32 v[64:65], v[104:105], s[10:11] op_sel_hi:[1,0]
	v_pk_add_f32 v[14:15], v[14:15], v[16:17]
	v_add_f32_e32 v21, v64, v21
	v_add_f32_e32 v6, v65, v6
	v_pk_mul_f32 v[102:103], v[102:103], s[6:7] op_sel:[1,0] op_sel_hi:[0,0]
	v_pk_add_f32 v[14:15], v[14:15], v[70:71]
	v_pk_mul_f32 v[66:67], v[66:67], s[10:11] op_sel_hi:[1,0]
	v_pk_add_f32 v[12:13], v[14:15], v[12:13]
	v_mov_b32_e32 v61, v63
	s_waitcnt vmcnt(8)
	v_mul_f32_e32 v25, v82, v85
	v_mul_f32_e32 v22, v83, v85
	v_fmac_f32_e32 v25, v83, v84
	v_fma_f32 v22, v82, v84, -v22
	v_mul_f32_e32 v32, v21, v25
	v_fma_f32 v65, v6, v22, -v32
	v_mul_f32_e32 v64, v6, v25
	v_add_u32_e32 v6, 0x4b, v3
	v_mul_lo_u32 v6, v30, v6
	v_lshlrev_b32_sdwa v25, v31, v6 dst_sel:DWORD dst_unused:UNUSED_PAD src0_sel:DWORD src1_sel:BYTE_0
	v_lshlrev_b32_sdwa v6, v31, v6 dst_sel:DWORD dst_unused:UNUSED_PAD src0_sel:DWORD src1_sel:BYTE_1
	global_load_dwordx2 v[82:83], v6, s[0:1] offset:2048
	global_load_dwordx2 v[84:85], v25, s[0:1]
	v_fmac_f32_e32 v64, v21, v22
	v_add_f32_e32 v6, v103, v99
	v_sub_f32_e32 v21, v100, v102
	v_add_f32_e32 v22, v67, v6
	v_add_f32_e32 v21, v66, v21
	s_waitcnt vmcnt(8)
	v_mul_f32_e32 v25, v108, v111
	v_mul_f32_e32 v6, v109, v111
	v_fmac_f32_e32 v25, v109, v110
	v_fma_f32 v6, v108, v110, -v6
	v_mul_f32_e32 v32, v21, v25
	v_fma_f32 v67, v22, v6, -v32
	v_mul_f32_e32 v66, v22, v25
	v_fmac_f32_e32 v66, v21, v6
	v_add_u32_e32 v21, 25, v3
	v_mul_lo_u32 v21, v30, v21
	s_waitcnt vmcnt(6)
	v_mov_b32_e32 v14, v113
	v_pk_mul_f32 v[14:15], v[74:75], v[14:15] op_sel:[1,0] op_sel_hi:[0,1]
	v_pk_fma_f32 v[70:71], v[74:75], v[112:113], v[14:15] neg_lo:[0,0,1] neg_hi:[0,0,1]
	v_pk_mul_f32 v[14:15], v[74:75], v[112:113] op_sel:[1,0] op_sel_hi:[0,1]
	v_mov_b32_e32 v22, v15
	ds_read2_b64 v[14:17], v76 offset0:32 offset1:192
	v_pk_fma_f32 v[68:69], v[74:75], v[112:113], v[22:23] op_sel:[1,0,0] op_sel_hi:[0,1,1]
	v_pk_mul_f32 v[74:75], v[12:13], v[68:69] op_sel_hi:[1,0]
	s_waitcnt vmcnt(4)
	v_mov_b32_e32 v22, v97
	v_pk_fma_f32 v[68:69], v[12:13], v[70:71], v[74:75] op_sel:[0,0,1] op_sel_hi:[1,1,0]
	v_pk_fma_f32 v[70:71], v[12:13], v[70:71], v[74:75] op_sel:[0,0,1] op_sel_hi:[1,0,0] neg_lo:[0,0,1] neg_hi:[0,0,1]
	s_waitcnt lgkmcnt(0)
	v_pk_mul_f32 v[12:13], v[16:17], v[86:87] op_sel:[0,1]
	v_mov_b32_e32 v69, v71
	v_pk_fma_f32 v[74:75], v[16:17], v[86:87], v[12:13] op_sel:[0,0,1] op_sel_hi:[1,1,0]
	v_pk_fma_f32 v[12:13], v[16:17], v[86:87], v[12:13] op_sel:[0,0,1] op_sel_hi:[1,0,0] neg_lo:[0,0,1] neg_hi:[0,0,1]
	s_waitcnt vmcnt(2)
	v_pk_mul_f32 v[104:105], v[80:81], v[78:79] op_sel:[1,0] op_sel_hi:[0,1]
	v_mov_b32_e32 v12, v89
	v_mov_b32_e32 v75, v13
	v_pk_mul_f32 v[12:13], v[10:11], v[12:13] op_sel_hi:[1,0]
	s_waitcnt vmcnt(0)
	v_pk_mul_f32 v[108:109], v[84:85], v[82:83] op_sel:[1,0] op_sel_hi:[0,1]
	v_pk_fma_f32 v[16:17], v[10:11], v[88:89], v[12:13] op_sel:[0,0,1] op_sel_hi:[1,1,0]
	v_pk_fma_f32 v[10:11], v[10:11], v[88:89], v[12:13] op_sel:[0,0,1] op_sel_hi:[1,0,0] neg_lo:[0,0,1] neg_hi:[0,0,1]
	v_pk_mul_f32 v[88:89], v[18:19], v[22:23] op_sel_hi:[1,0]
	v_mov_b32_e32 v17, v11
	ds_read2_b64 v[10:13], v77 offset0:32 offset1:192
	v_pk_fma_f32 v[76:77], v[18:19], v[96:97], v[88:89] op_sel:[0,0,1] op_sel_hi:[1,1,0]
	v_pk_fma_f32 v[18:19], v[18:19], v[96:97], v[88:89] op_sel:[0,0,1] op_sel_hi:[1,0,0] neg_lo:[0,0,1] neg_hi:[0,0,1]
	v_pk_add_f32 v[86:87], v[74:75], v[16:17] neg_lo:[0,1] neg_hi:[0,1]
	v_mov_b32_e32 v77, v19
	s_waitcnt lgkmcnt(0)
	v_pk_mul_f32 v[88:89], v[12:13], v[94:95] op_sel:[0,1]
	v_mov_b32_e32 v22, v79
	v_pk_fma_f32 v[18:19], v[12:13], v[94:95], v[88:89] op_sel:[0,0,1] op_sel_hi:[1,1,0]
	v_pk_fma_f32 v[12:13], v[12:13], v[94:95], v[88:89] op_sel:[0,0,1] op_sel_hi:[1,0,0] neg_lo:[0,0,1] neg_hi:[0,0,1]
	v_pk_add_f32 v[94:95], v[74:75], v[76:77] neg_lo:[0,1] neg_hi:[0,1]
	v_mov_b32_e32 v19, v13
	v_pk_add_f32 v[12:13], v[76:77], v[18:19] neg_lo:[0,1] neg_hi:[0,1]
	ds_read_b64 v[88:89], v29
	v_pk_add_f32 v[12:13], v[86:87], v[12:13]
	v_pk_add_f32 v[86:87], v[16:17], v[18:19]
	s_nop 0
	v_pk_fma_f32 v[86:87], v[86:87], 0.5, v[72:73] op_sel_hi:[1,0,1] neg_lo:[1,0,0] neg_hi:[1,0,0]
	s_nop 0
	v_pk_fma_f32 v[96:97], v[94:95], s[2:3], v[86:87] op_sel:[1,0,0] op_sel_hi:[0,0,1]
	v_pk_fma_f32 v[98:99], v[94:95], s[2:3], v[86:87] op_sel:[1,0,0] op_sel_hi:[0,0,1] neg_lo:[1,0,0] neg_hi:[1,0,0]
	v_pk_add_f32 v[86:87], v[16:17], v[18:19] neg_lo:[0,1] neg_hi:[0,1]
	s_nop 0
	v_pk_fma_f32 v[100:101], v[86:87], s[6:7], v[96:97] op_sel:[1,0,0] op_sel_hi:[0,0,1]
	v_pk_fma_f32 v[102:103], v[86:87], s[6:7], v[98:99] op_sel:[1,0,0] op_sel_hi:[0,0,1] neg_lo:[1,0,0] neg_hi:[1,0,0]
	v_mov_b32_e32 v101, v103
	v_pk_mul_f32 v[102:103], v[80:81], v[22:23] op_sel:[1,0] op_sel_hi:[0,1]
	v_mov_b32_e32 v22, v105
	v_pk_fma_f32 v[100:101], v[12:13], s[10:11], v[100:101] op_sel_hi:[1,0,1]
	v_pk_fma_f32 v[102:103], v[80:81], v[78:79], v[102:103] neg_lo:[0,0,1] neg_hi:[0,0,1]
	v_pk_fma_f32 v[78:79], v[80:81], v[78:79], v[22:23] op_sel:[1,0,0] op_sel_hi:[0,1,1]
	v_pk_mul_f32 v[80:81], v[100:101], v[78:79] op_sel_hi:[1,0]
	v_mov_b32_e32 v22, v83
	v_pk_fma_f32 v[78:79], v[100:101], v[102:103], v[80:81] op_sel:[0,0,1] op_sel_hi:[1,1,0]
	v_pk_fma_f32 v[80:81], v[100:101], v[102:103], v[80:81] op_sel:[0,0,1] op_sel_hi:[1,0,0] neg_lo:[0,0,1] neg_hi:[0,0,1]
	v_pk_add_f32 v[100:101], v[16:17], v[74:75] neg_lo:[0,1] neg_hi:[0,1]
	v_pk_add_f32 v[102:103], v[18:19], v[76:77] neg_lo:[0,1] neg_hi:[0,1]
	v_pk_mul_f32 v[106:107], v[84:85], v[22:23] op_sel:[1,0] op_sel_hi:[0,1]
	v_pk_add_f32 v[100:101], v[100:101], v[102:103]
	v_pk_add_f32 v[102:103], v[74:75], v[76:77]
	v_mov_b32_e32 v22, v109
	v_pk_fma_f32 v[102:103], v[102:103], 0.5, v[72:73] op_sel_hi:[1,0,1] neg_lo:[1,0,0] neg_hi:[1,0,0]
	v_pk_fma_f32 v[106:107], v[84:85], v[82:83], v[106:107] neg_lo:[0,0,1] neg_hi:[0,0,1]
	v_pk_fma_f32 v[104:105], v[86:87], s[2:3], v[102:103] op_sel:[1,0,0] op_sel_hi:[0,0,1] neg_lo:[1,0,0] neg_hi:[1,0,0]
	v_pk_fma_f32 v[102:103], v[86:87], s[2:3], v[102:103] op_sel:[1,0,0] op_sel_hi:[0,0,1]
	v_pk_fma_f32 v[82:83], v[84:85], v[82:83], v[22:23] op_sel:[1,0,0] op_sel_hi:[0,1,1]
	;; [unrolled: 1-line block ×3, first 2 shown]
	v_pk_fma_f32 v[108:109], v[94:95], s[6:7], v[102:103] op_sel:[1,0,0] op_sel_hi:[0,0,1] neg_lo:[1,0,0] neg_hi:[1,0,0]
	v_mov_b32_e32 v85, v109
	v_add_u32_e32 v22, 50, v3
	v_pk_fma_f32 v[84:85], v[100:101], s[10:11], v[84:85] op_sel_hi:[1,0,1]
	v_mul_lo_u32 v22, v30, v22
	v_pk_mul_f32 v[108:109], v[84:85], v[82:83] op_sel_hi:[1,0]
	v_lshlrev_b32_sdwa v25, v31, v22 dst_sel:DWORD dst_unused:UNUSED_PAD src0_sel:DWORD src1_sel:BYTE_0
	v_pk_fma_f32 v[82:83], v[84:85], v[106:107], v[108:109] op_sel:[0,0,1] op_sel_hi:[1,1,0]
	v_pk_fma_f32 v[84:85], v[84:85], v[106:107], v[108:109] op_sel:[0,0,1] op_sel_hi:[1,0,0] neg_lo:[0,0,1] neg_hi:[0,0,1]
	v_lshlrev_b32_sdwa v22, v31, v22 dst_sel:DWORD dst_unused:UNUSED_PAD src0_sel:DWORD src1_sel:BYTE_1
	global_load_dwordx2 v[106:107], v25, s[0:1]
	global_load_dwordx2 v[108:109], v22, s[0:1] offset:2048
	v_pk_mul_f32 v[94:95], v[94:95], s[6:7] op_sel:[1,0] op_sel_hi:[0,0]
	v_lshlrev_b32_sdwa v22, v31, v21 dst_sel:DWORD dst_unused:UNUSED_PAD src0_sel:DWORD src1_sel:BYTE_0
	v_lshlrev_b32_sdwa v21, v31, v21 dst_sel:DWORD dst_unused:UNUSED_PAD src0_sel:DWORD src1_sel:BYTE_1
	v_add_f32_e32 v6, v95, v105
	global_load_dwordx2 v[104:105], v22, s[0:1]
	global_load_dwordx2 v[110:111], v21, s[0:1] offset:2048
	v_pk_mul_f32 v[112:113], v[86:87], s[6:7] op_sel:[1,0] op_sel_hi:[0,0]
	v_pk_mul_f32 v[86:87], v[100:101], s[10:11] op_sel_hi:[1,0]
	v_sub_f32_e32 v21, v102, v94
	v_add_f32_e32 v21, v86, v21
	v_add_f32_e32 v6, v87, v6
	v_mul_lo_u32 v3, v30, v3
	s_movk_i32 s3, 0x320
	v_cmp_gt_u32_e32 vcc, s3, v0
	v_pk_add_f32 v[72:73], v[72:73], v[74:75]
	v_pk_mul_f32 v[12:13], v[12:13], s[10:11] op_sel_hi:[1,0]
	v_pk_add_f32 v[16:17], v[72:73], v[16:17]
	v_mov_b32_e32 v83, v85
	v_pk_add_f32 v[16:17], v[16:17], v[18:19]
	v_mov_b32_e32 v79, v81
	v_pk_add_f32 v[18:19], v[16:17], v[76:77]
	s_waitcnt vmcnt(2)
	v_mul_f32_e32 v25, v106, v109
	v_mul_f32_e32 v22, v107, v109
	v_fmac_f32_e32 v25, v107, v108
	v_fma_f32 v22, v106, v108, -v22
	v_mul_f32_e32 v29, v21, v25
	v_fma_f32 v87, v6, v22, -v29
	v_mul_f32_e32 v86, v6, v25
	v_lshlrev_b32_sdwa v6, v31, v3 dst_sel:DWORD dst_unused:UNUSED_PAD src0_sel:DWORD src1_sel:BYTE_0
	v_lshlrev_b32_sdwa v3, v31, v3 dst_sel:DWORD dst_unused:UNUSED_PAD src0_sel:DWORD src1_sel:BYTE_1
	global_load_dwordx2 v[94:95], v6, s[0:1]
	global_load_dwordx2 v[100:101], v3, s[0:1] offset:2048
	v_subrev_u32_e32 v3, 25, v27
	v_cndmask_b32_e32 v3, v3, v27, vcc
	v_add_u32_e32 v6, 0x64, v3
	v_mul_lo_u32 v6, v30, v6
	v_lshlrev_b32_sdwa v25, v31, v6 dst_sel:DWORD dst_unused:UNUSED_PAD src0_sel:DWORD src1_sel:BYTE_0
	v_lshlrev_b32_sdwa v6, v31, v6 dst_sel:DWORD dst_unused:UNUSED_PAD src0_sel:DWORD src1_sel:BYTE_1
	global_load_dwordx2 v[102:103], v25, s[0:1]
	global_load_dwordx2 v[106:107], v6, s[0:1] offset:2048
	v_add_u32_e32 v6, 0x4b, v3
	v_mul_lo_u32 v6, v30, v6
	v_lshlrev_b32_sdwa v29, v31, v6 dst_sel:DWORD dst_unused:UNUSED_PAD src0_sel:DWORD src1_sel:BYTE_1
	v_lshlrev_b32_sdwa v6, v31, v6 dst_sel:DWORD dst_unused:UNUSED_PAD src0_sel:DWORD src1_sel:BYTE_0
	v_add_f32_e32 v25, v113, v97
	v_sub_f32_e32 v27, v98, v112
	global_load_dwordx2 v[96:97], v29, s[0:1] offset:2048
	global_load_dwordx2 v[98:99], v6, s[0:1]
	s_waitcnt vmcnt(6)
	v_mul_f32_e32 v6, v105, v111
	v_fmac_f32_e32 v86, v21, v22
	v_fma_f32 v21, v104, v110, -v6
	v_add_u32_e32 v6, 50, v3
	v_mul_lo_u32 v6, v30, v6
	v_mul_f32_e32 v22, v104, v111
	v_lshlrev_b32_sdwa v29, v31, v6 dst_sel:DWORD dst_unused:UNUSED_PAD src0_sel:DWORD src1_sel:BYTE_0
	v_lshlrev_b32_sdwa v6, v31, v6 dst_sel:DWORD dst_unused:UNUSED_PAD src0_sel:DWORD src1_sel:BYTE_1
	v_fmac_f32_e32 v22, v105, v110
	global_load_dwordx2 v[104:105], v29, s[0:1]
	global_load_dwordx2 v[108:109], v6, s[0:1] offset:2048
	v_lshlrev_b32_e32 v32, 2, v3
	s_waitcnt vmcnt(6)
	v_mov_b32_e32 v6, v101
	v_pk_mul_f32 v[16:17], v[94:95], v[6:7] op_sel:[1,0] op_sel_hi:[0,1]
	v_pk_fma_f32 v[72:73], v[94:95], v[100:101], v[16:17] neg_lo:[0,0,1] neg_hi:[0,0,1]
	v_pk_mul_f32 v[16:17], v[94:95], v[100:101] op_sel:[1,0] op_sel_hi:[0,1]
	v_mov_b32_e32 v6, v17
	v_pk_fma_f32 v[16:17], v[94:95], v[100:101], v[6:7] op_sel:[1,0,0] op_sel_hi:[0,1,1]
	v_pk_mul_f32 v[74:75], v[18:19], v[16:17] op_sel_hi:[1,0]
	s_waitcnt vmcnt(4)
	v_mov_b32_e32 v6, v107
	v_pk_fma_f32 v[16:17], v[18:19], v[72:73], v[74:75] op_sel:[0,0,1] op_sel_hi:[1,1,0]
	v_pk_fma_f32 v[18:19], v[18:19], v[72:73], v[74:75] op_sel:[0,0,1] op_sel_hi:[1,0,0] neg_lo:[0,0,1] neg_hi:[0,0,1]
	v_pk_mul_f32 v[72:73], v[102:103], v[6:7] op_sel:[1,0] op_sel_hi:[0,1]
	v_add_u32_e32 v17, 25, v3
	v_pk_fma_f32 v[100:101], v[102:103], v[106:107], v[72:73] neg_lo:[0,0,1] neg_hi:[0,0,1]
	v_pk_mul_f32 v[72:73], v[102:103], v[106:107] op_sel:[1,0] op_sel_hi:[0,1]
	v_mul_lo_u32 v17, v30, v17
	v_mov_b32_e32 v6, v73
	v_lshlrev_b32_sdwa v18, v31, v17 dst_sel:DWORD dst_unused:UNUSED_PAD src0_sel:DWORD src1_sel:BYTE_0
	v_pk_fma_f32 v[102:103], v[102:103], v[106:107], v[6:7] op_sel:[1,0,0] op_sel_hi:[0,1,1]
	v_lshlrev_b32_sdwa v17, v31, v17 dst_sel:DWORD dst_unused:UNUSED_PAD src0_sel:DWORD src1_sel:BYTE_1
	global_load_dwordx2 v[106:107], v18, s[0:1]
	global_load_dwordx2 v[110:111], v17, s[0:1] offset:2048
	v_mul_lo_u32 v17, v30, v3
	v_lshlrev_b32_sdwa v18, v31, v17 dst_sel:DWORD dst_unused:UNUSED_PAD src0_sel:DWORD src1_sel:BYTE_0
	v_lshlrev_b32_sdwa v17, v31, v17 dst_sel:DWORD dst_unused:UNUSED_PAD src0_sel:DWORD src1_sel:BYTE_1
	global_load_dwordx2 v[112:113], v18, s[0:1]
	global_load_dwordx2 v[114:115], v17, s[0:1] offset:2048
	s_waitcnt vmcnt(7)
	v_mov_b32_e32 v6, v97
	s_waitcnt vmcnt(6)
	v_pk_mul_f32 v[74:75], v[98:99], v[96:97] op_sel:[1,0] op_sel_hi:[0,1]
	v_lshl_add_u64 v[94:95], v[32:33], 3, s[12:13]
	v_pk_mul_f32 v[72:73], v[98:99], v[6:7] op_sel:[1,0] op_sel_hi:[0,1]
	v_mov_b32_e32 v6, v75
	global_load_dwordx4 v[74:77], v[94:95], off offset:160
	v_pk_fma_f32 v[72:73], v[98:99], v[96:97], v[72:73] neg_lo:[0,0,1] neg_hi:[0,0,1]
	v_pk_fma_f32 v[30:31], v[98:99], v[96:97], v[6:7] op_sel:[1,0,0] op_sel_hi:[0,1,1]
	global_load_dwordx4 v[94:97], v[94:95], off offset:176
	s_waitcnt vmcnt(6)
	v_mul_f32_e32 v6, v105, v109
	v_add_f32_e32 v18, v12, v27
	v_fma_f32 v17, v104, v108, -v6
	v_add_f32_e32 v6, v13, v25
	v_mul_f32_e32 v12, v18, v22
	s_movk_i32 s1, 0x31f
	v_fma_f32 v13, v6, v21, -v12
	v_mul_f32_e32 v12, v6, v22
	v_mov_b32_e32 v6, 0x7d
	v_cmp_lt_u32_e32 vcc, s1, v0
	v_fmac_f32_e32 v12, v18, v21
	v_mul_f32_e32 v32, v104, v109
	v_cndmask_b32_e32 v6, 0, v6, vcc
	v_add_u32_e32 v3, v3, v6
	v_fmac_f32_e32 v32, v105, v108
	s_movk_i32 s1, 0x27f
	v_cmp_lt_u32_e32 vcc, s1, v0
	s_movk_i32 s1, 0x1df
	s_movk_i32 s0, 0x64
	v_mov_b32_e32 v25, v47
	s_waitcnt vmcnt(4)
	v_mul_f32_e32 v6, v107, v111
	v_fma_f32 v21, v106, v110, -v6
	v_add_u32_e32 v6, v26, v28
	v_mad_u64_u32 v[26:27], s[12:13], s8, v3, v[6:7]
	v_mov_b32_e32 v27, v33
	s_waitcnt vmcnt(2)
	v_mov_b32_e32 v18, v115
	v_lshl_add_u64 v[98:99], v[26:27], 3, s[4:5]
	v_pk_mul_f32 v[26:27], v[112:113], v[18:19] op_sel:[1,0] op_sel_hi:[0,1]
	v_pk_fma_f32 v[104:105], v[112:113], v[114:115], v[26:27] neg_lo:[0,0,1] neg_hi:[0,0,1]
	v_pk_mul_f32 v[26:27], v[112:113], v[114:115] op_sel:[1,0] op_sel_hi:[0,1]
	v_mul_f32_e32 v22, v106, v111
	v_mov_b32_e32 v18, v27
	s_waitcnt vmcnt(1)
	v_pk_mul_f32 v[26:27], v[74:75], v[14:15] op_sel:[0,1]
	v_fmac_f32_e32 v22, v107, v110
	v_pk_fma_f32 v[106:107], v[112:113], v[114:115], v[18:19] op_sel:[1,0,0] op_sel_hi:[0,1,1]
	v_add_u32_e32 v18, 25, v3
	v_pk_fma_f32 v[28:29], v[74:75], v[14:15], v[26:27] op_sel:[0,0,1] op_sel_hi:[1,1,0]
	v_pk_fma_f32 v[108:109], v[74:75], v[14:15], v[26:27] op_sel:[0,0,1] op_sel_hi:[1,0,0] neg_lo:[1,0,0] neg_hi:[1,0,0]
	v_pk_mul_f32 v[14:15], v[76:77], v[8:9] op_sel:[0,1]
	v_mov_b32_e32 v29, v109
	v_pk_fma_f32 v[74:75], v[76:77], v[8:9], v[14:15] op_sel:[0,0,1] op_sel_hi:[1,1,0]
	v_pk_fma_f32 v[110:111], v[76:77], v[8:9], v[14:15] op_sel:[0,0,1] op_sel_hi:[1,0,0] neg_lo:[1,0,0] neg_hi:[1,0,0]
	v_mad_u64_u32 v[8:9], s[12:13], s8, v18, v[6:7]
	s_waitcnt vmcnt(0)
	v_mov_b32_e32 v18, v97
	v_pk_mul_f32 v[108:109], v[4:5], v[18:19] op_sel_hi:[1,0]
	v_mov_b32_e32 v75, v111
	v_pk_fma_f32 v[112:113], v[4:5], v[96:97], v[108:109] op_sel:[0,0,1] op_sel_hi:[1,1,0]
	v_pk_fma_f32 v[4:5], v[4:5], v[96:97], v[108:109] op_sel:[0,0,1] op_sel_hi:[1,0,0] neg_lo:[0,0,1] neg_hi:[0,0,1]
	v_mov_b32_e32 v9, v33
	v_mov_b32_e32 v113, v5
	v_pk_mul_f32 v[4:5], v[94:95], v[10:11] op_sel:[0,1]
	v_pk_add_f32 v[108:109], v[28:29], v[112:113] neg_lo:[0,1] neg_hi:[0,1]
	v_pk_fma_f32 v[96:97], v[94:95], v[10:11], v[4:5] op_sel:[0,0,1] op_sel_hi:[1,1,0]
	v_pk_fma_f32 v[4:5], v[94:95], v[10:11], v[4:5] op_sel:[0,0,1] op_sel_hi:[1,0,0] neg_lo:[1,0,0] neg_hi:[1,0,0]
	v_lshl_add_u64 v[76:77], v[8:9], 3, s[4:5]
	v_mov_b32_e32 v97, v5
	v_pk_add_f32 v[4:5], v[28:29], v[74:75] neg_lo:[0,1] neg_hi:[0,1]
	v_pk_add_f32 v[10:11], v[112:113], v[96:97] neg_lo:[0,1] neg_hi:[0,1]
	;; [unrolled: 1-line block ×3, first 2 shown]
	v_pk_add_f32 v[4:5], v[4:5], v[10:11]
	v_pk_add_f32 v[10:11], v[74:75], v[96:97]
	v_add_u32_e32 v8, 50, v3
	s_waitcnt lgkmcnt(0)
	v_pk_fma_f32 v[10:11], v[10:11], 0.5, v[88:89] op_sel_hi:[1,0,1] neg_lo:[1,0,0] neg_hi:[1,0,0]
	v_mad_u64_u32 v[8:9], s[12:13], s8, v8, v[6:7]
	v_pk_fma_f32 v[110:111], v[108:109], s[2:3], v[10:11] op_sel:[1,0,0] op_sel_hi:[0,0,1]
	v_pk_fma_f32 v[114:115], v[108:109], s[2:3], v[10:11] op_sel:[1,0,0] op_sel_hi:[0,0,1] neg_lo:[1,0,0] neg_hi:[1,0,0]
	v_pk_fma_f32 v[10:11], v[94:95], s[6:7], v[110:111] op_sel:[1,0,0] op_sel_hi:[0,0,1]
	v_pk_fma_f32 v[116:117], v[94:95], s[6:7], v[114:115] op_sel:[1,0,0] op_sel_hi:[0,0,1] neg_lo:[1,0,0] neg_hi:[1,0,0]
	v_mov_b32_e32 v11, v117
	v_pk_fma_f32 v[10:11], v[4:5], s[10:11], v[10:11] op_sel_hi:[1,0,1]
	v_pk_mul_f32 v[116:117], v[4:5], s[10:11] op_sel_hi:[1,0]
	v_pk_mul_f32 v[102:103], v[10:11], v[102:103] op_sel_hi:[1,0]
	v_mov_b32_e32 v9, v33
	v_pk_fma_f32 v[4:5], v[10:11], v[100:101], v[102:103] op_sel:[0,0,1] op_sel_hi:[1,1,0]
	v_pk_fma_f32 v[10:11], v[10:11], v[100:101], v[102:103] op_sel:[0,0,1] op_sel_hi:[1,0,0] neg_lo:[0,0,1] neg_hi:[0,0,1]
	v_pk_add_f32 v[102:103], v[88:89], v[28:29]
	v_lshl_add_u64 v[26:27], v[8:9], 3, s[4:5]
	v_pk_add_f32 v[102:103], v[102:103], v[74:75]
	v_add_u32_e32 v8, 0x4b, v3
	v_pk_add_f32 v[102:103], v[102:103], v[96:97]
	v_add_u32_e32 v3, 0x64, v3
	v_pk_mul_f32 v[100:101], v[94:95], s[6:7] op_sel:[1,0] op_sel_hi:[0,0]
	v_pk_add_f32 v[102:103], v[102:103], v[112:113]
	v_mad_u64_u32 v[14:15], s[12:13], s8, v3, v[6:7]
	v_add_f32_e32 v3, v101, v111
	v_sub_f32_e32 v5, v114, v100
	v_pk_mul_f32 v[106:107], v[102:103], v[106:107] op_sel_hi:[1,0]
	v_pk_add_f32 v[74:75], v[74:75], v[28:29] neg_lo:[0,1] neg_hi:[0,1]
	v_pk_add_f32 v[28:29], v[28:29], v[112:113]
	v_add_f32_e32 v3, v117, v3
	v_add_f32_e32 v5, v116, v5
	v_pk_fma_f32 v[110:111], v[102:103], v[104:105], v[106:107] op_sel:[0,0,1] op_sel_hi:[1,1,0]
	v_pk_fma_f32 v[102:103], v[102:103], v[104:105], v[106:107] op_sel:[0,0,1] op_sel_hi:[1,0,0] neg_lo:[0,0,1] neg_hi:[0,0,1]
	v_pk_fma_f32 v[28:29], v[28:29], 0.5, v[88:89] op_sel_hi:[1,0,1] neg_lo:[1,0,0] neg_hi:[1,0,0]
	v_mul_f32_e32 v10, v5, v22
	v_mul_f32_e32 v100, v3, v22
	v_mov_b32_e32 v111, v103
	v_pk_fma_f32 v[88:89], v[94:95], s[2:3], v[28:29] op_sel:[1,0,0] op_sel_hi:[0,0,1] neg_lo:[1,0,0] neg_hi:[1,0,0]
	v_pk_fma_f32 v[28:29], v[94:95], s[2:3], v[28:29] op_sel:[1,0,0] op_sel_hi:[0,0,1]
	v_fma_f32 v101, v3, v21, -v10
	v_fmac_f32_e32 v100, v5, v21
	global_store_dwordx2 v[98:99], v[110:111], off
	global_store_dwordx2 v[76:77], v[100:101], off
	v_pk_add_f32 v[76:77], v[96:97], v[112:113] neg_lo:[0,1] neg_hi:[0,1]
	v_pk_fma_f32 v[94:95], v[108:109], s[6:7], v[88:89] op_sel:[1,0,0] op_sel_hi:[0,0,1]
	v_pk_fma_f32 v[98:99], v[108:109], s[6:7], v[28:29] op_sel:[1,0,0] op_sel_hi:[0,0,1] neg_lo:[1,0,0] neg_hi:[1,0,0]
	v_pk_add_f32 v[74:75], v[74:75], v[76:77]
	v_pk_mul_f32 v[96:97], v[108:109], s[6:7] op_sel:[1,0] op_sel_hi:[0,0]
	v_mov_b32_e32 v95, v99
	v_pk_mul_f32 v[76:77], v[74:75], s[10:11] op_sel_hi:[1,0]
	v_pk_fma_f32 v[74:75], v[74:75], s[10:11], v[94:95] op_sel_hi:[1,0,1]
	v_add_f32_e32 v3, v97, v89
	v_sub_f32_e32 v5, v28, v96
	v_mad_u64_u32 v[8:9], s[12:13], s8, v8, v[6:7]
	v_pk_mul_f32 v[30:31], v[74:75], v[30:31] op_sel_hi:[1,0]
	v_add_f32_e32 v3, v77, v3
	v_add_f32_e32 v5, v76, v5
	v_mov_b32_e32 v9, v33
	v_mov_b32_e32 v15, v33
	v_pk_fma_f32 v[94:95], v[74:75], v[72:73], v[30:31] op_sel:[0,0,1] op_sel_hi:[1,1,0]
	v_pk_fma_f32 v[30:31], v[74:75], v[72:73], v[30:31] op_sel:[0,0,1] op_sel_hi:[1,0,0] neg_lo:[0,0,1] neg_hi:[0,0,1]
	v_mul_f32_e32 v10, v5, v32
	v_mul_f32_e32 v28, v3, v32
	v_lshl_add_u64 v[8:9], v[8:9], 3, s[4:5]
	v_lshl_add_u64 v[14:15], v[14:15], 3, s[4:5]
	v_fma_f32 v29, v3, v17, -v10
	v_fmac_f32_e32 v28, v5, v17
	v_mov_b32_e32 v95, v31
	v_mov_b32_e32 v5, v11
	;; [unrolled: 1-line block ×3, first 2 shown]
	global_store_dwordx2 v[26:27], v[28:29], off
	global_store_dwordx2 v[8:9], v[94:95], off
	global_store_dwordx2 v[14:15], v[4:5], off
	v_cndmask_b32_e32 v4, 0, v3, vcc
	v_add_u32_e32 v1, v4, v1
	v_mad_u64_u32 v[4:5], s[2:3], s8, v1, v[6:7]
	v_mov_b32_e32 v5, v33
	v_lshl_add_u64 v[4:5], v[4:5], 3, s[4:5]
	v_mov_b32_e32 v17, v19
	global_store_dwordx2 v[4:5], v[16:17], off
	v_add_u32_e32 v4, 25, v1
	v_mad_u64_u32 v[4:5], s[2:3], s8, v4, v[6:7]
	v_mov_b32_e32 v5, v33
	v_lshl_add_u64 v[4:5], v[4:5], 3, s[4:5]
	global_store_dwordx2 v[4:5], v[12:13], off
	v_add_u32_e32 v4, 50, v1
	v_mad_u64_u32 v[4:5], s[2:3], s8, v4, v[6:7]
	v_mov_b32_e32 v5, v33
	v_lshl_add_u64 v[4:5], v[4:5], 3, s[4:5]
	;; [unrolled: 5-line block ×3, first 2 shown]
	v_add_u32_e32 v1, 0x64, v1
	global_store_dwordx2 v[4:5], v[82:83], off
	v_mad_u64_u32 v[4:5], s[2:3], s8, v1, v[6:7]
	v_cmp_lt_u32_e32 vcc, s1, v0
	v_mov_b32_e32 v5, v33
	v_lshl_add_u64 v[4:5], v[4:5], 3, s[4:5]
	v_cndmask_b32_e32 v1, 0, v3, vcc
	v_add_u32_e32 v1, v1, v90
	global_store_dwordx2 v[4:5], v[78:79], off
	v_mad_u64_u32 v[4:5], s[2:3], s8, v1, v[6:7]
	v_mov_b32_e32 v5, v33
	v_lshl_add_u64 v[4:5], v[4:5], 3, s[4:5]
	global_store_dwordx2 v[4:5], v[68:69], off
	v_add_u32_e32 v4, 25, v1
	v_mad_u64_u32 v[4:5], s[2:3], s8, v4, v[6:7]
	v_mov_b32_e32 v5, v33
	v_lshl_add_u64 v[4:5], v[4:5], 3, s[4:5]
	global_store_dwordx2 v[4:5], v[66:67], off
	v_add_u32_e32 v4, 50, v1
	;; [unrolled: 5-line block ×3, first 2 shown]
	s_movk_i32 s1, 0x13f
	v_mad_u64_u32 v[4:5], s[2:3], s8, v4, v[6:7]
	v_cmp_lt_u32_e32 vcc, s1, v0
	v_mov_b32_e32 v5, v33
	v_lshl_add_u64 v[4:5], v[4:5], 3, s[4:5]
	v_cndmask_b32_e32 v0, 0, v3, vcc
	v_add_u32_e32 v1, 0x64, v1
	v_add_u32_e32 v3, v0, v91
	global_store_dwordx2 v[4:5], v[60:61], off
	v_mad_u64_u32 v[4:5], s[2:3], s8, v1, v[6:7]
	v_mad_u64_u32 v[0:1], s[2:3], s8, v3, v[6:7]
	v_mov_b32_e32 v5, v33
	v_mov_b32_e32 v1, v33
	v_lshl_add_u64 v[4:5], v[4:5], 3, s[4:5]
	v_mov_b32_e32 v21, v23
	v_lshl_add_u64 v[0:1], v[0:1], 3, s[4:5]
	global_store_dwordx2 v[4:5], v[20:21], off
	global_store_dwordx2 v[0:1], v[56:57], off
	v_add_u32_e32 v0, 25, v3
	v_mad_u64_u32 v[0:1], s[2:3], s8, v0, v[6:7]
	v_mov_b32_e32 v1, v33
	v_lshl_add_u64 v[0:1], v[0:1], 3, s[4:5]
	global_store_dwordx2 v[0:1], v[54:55], off
	v_add_u32_e32 v0, 50, v3
	v_mad_u64_u32 v[0:1], s[2:3], s8, v0, v[6:7]
	v_mov_b32_e32 v1, v33
	v_lshl_add_u64 v[0:1], v[0:1], 3, s[4:5]
	;; [unrolled: 5-line block ×4, first 2 shown]
	v_mad_u32_u24 v3, v93, s0, v92
	global_store_dwordx2 v[0:1], v[24:25], off
	v_mad_u64_u32 v[0:1], s[0:1], s8, v3, v[6:7]
	v_mov_b32_e32 v1, v33
	v_lshl_add_u64 v[0:1], v[0:1], 3, s[4:5]
	global_store_dwordx2 v[0:1], v[42:43], off
	v_add_u32_e32 v0, 25, v3
	v_mad_u64_u32 v[0:1], s[0:1], s8, v0, v[6:7]
	v_mov_b32_e32 v1, v33
	v_lshl_add_u64 v[0:1], v[0:1], 3, s[4:5]
	global_store_dwordx2 v[0:1], v[40:41], off
	v_add_u32_e32 v0, 50, v3
	;; [unrolled: 5-line block ×4, first 2 shown]
	v_mad_u64_u32 v[0:1], s[0:1], s8, v0, v[6:7]
	v_mov_b32_e32 v1, v33
	v_lshl_add_u64 v[0:1], v[0:1], 3, s[4:5]
	v_mov_b32_e32 v3, v7
	global_store_dwordx2 v[0:1], v[2:3], off
.LBB0_58:
	s_endpgm
	.section	.rodata,"a",@progbits
	.p2align	6, 0x0
	.amdhsa_kernel fft_rtc_back_len125_factors_5_5_5_wgs_160_tpt_5_dim3_sp_ip_CI_sbcc_twdbase8_2step_dirReg_intrinsicReadWrite
		.amdhsa_group_segment_fixed_size 0
		.amdhsa_private_segment_fixed_size 0
		.amdhsa_kernarg_size 88
		.amdhsa_user_sgpr_count 2
		.amdhsa_user_sgpr_dispatch_ptr 0
		.amdhsa_user_sgpr_queue_ptr 0
		.amdhsa_user_sgpr_kernarg_segment_ptr 1
		.amdhsa_user_sgpr_dispatch_id 0
		.amdhsa_user_sgpr_kernarg_preload_length 0
		.amdhsa_user_sgpr_kernarg_preload_offset 0
		.amdhsa_user_sgpr_private_segment_size 0
		.amdhsa_uses_dynamic_stack 0
		.amdhsa_enable_private_segment 0
		.amdhsa_system_sgpr_workgroup_id_x 1
		.amdhsa_system_sgpr_workgroup_id_y 0
		.amdhsa_system_sgpr_workgroup_id_z 0
		.amdhsa_system_sgpr_workgroup_info 0
		.amdhsa_system_vgpr_workitem_id 0
		.amdhsa_next_free_vgpr 125
		.amdhsa_next_free_sgpr 26
		.amdhsa_accum_offset 128
		.amdhsa_reserve_vcc 1
		.amdhsa_float_round_mode_32 0
		.amdhsa_float_round_mode_16_64 0
		.amdhsa_float_denorm_mode_32 3
		.amdhsa_float_denorm_mode_16_64 3
		.amdhsa_dx10_clamp 1
		.amdhsa_ieee_mode 1
		.amdhsa_fp16_overflow 0
		.amdhsa_tg_split 0
		.amdhsa_exception_fp_ieee_invalid_op 0
		.amdhsa_exception_fp_denorm_src 0
		.amdhsa_exception_fp_ieee_div_zero 0
		.amdhsa_exception_fp_ieee_overflow 0
		.amdhsa_exception_fp_ieee_underflow 0
		.amdhsa_exception_fp_ieee_inexact 0
		.amdhsa_exception_int_div_zero 0
	.end_amdhsa_kernel
	.text
.Lfunc_end0:
	.size	fft_rtc_back_len125_factors_5_5_5_wgs_160_tpt_5_dim3_sp_ip_CI_sbcc_twdbase8_2step_dirReg_intrinsicReadWrite, .Lfunc_end0-fft_rtc_back_len125_factors_5_5_5_wgs_160_tpt_5_dim3_sp_ip_CI_sbcc_twdbase8_2step_dirReg_intrinsicReadWrite
                                        ; -- End function
	.section	.AMDGPU.csdata,"",@progbits
; Kernel info:
; codeLenInByte = 12672
; NumSgprs: 32
; NumVgprs: 125
; NumAgprs: 0
; TotalNumVgprs: 125
; ScratchSize: 0
; MemoryBound: 0
; FloatMode: 240
; IeeeMode: 1
; LDSByteSize: 0 bytes/workgroup (compile time only)
; SGPRBlocks: 3
; VGPRBlocks: 15
; NumSGPRsForWavesPerEU: 32
; NumVGPRsForWavesPerEU: 125
; AccumOffset: 128
; Occupancy: 4
; WaveLimiterHint : 1
; COMPUTE_PGM_RSRC2:SCRATCH_EN: 0
; COMPUTE_PGM_RSRC2:USER_SGPR: 2
; COMPUTE_PGM_RSRC2:TRAP_HANDLER: 0
; COMPUTE_PGM_RSRC2:TGID_X_EN: 1
; COMPUTE_PGM_RSRC2:TGID_Y_EN: 0
; COMPUTE_PGM_RSRC2:TGID_Z_EN: 0
; COMPUTE_PGM_RSRC2:TIDIG_COMP_CNT: 0
; COMPUTE_PGM_RSRC3_GFX90A:ACCUM_OFFSET: 31
; COMPUTE_PGM_RSRC3_GFX90A:TG_SPLIT: 0
	.text
	.p2alignl 6, 3212836864
	.fill 256, 4, 3212836864
	.type	__hip_cuid_f9f3cc9c4caaf6a8,@object ; @__hip_cuid_f9f3cc9c4caaf6a8
	.section	.bss,"aw",@nobits
	.globl	__hip_cuid_f9f3cc9c4caaf6a8
__hip_cuid_f9f3cc9c4caaf6a8:
	.byte	0                               ; 0x0
	.size	__hip_cuid_f9f3cc9c4caaf6a8, 1

	.ident	"AMD clang version 19.0.0git (https://github.com/RadeonOpenCompute/llvm-project roc-6.4.0 25133 c7fe45cf4b819c5991fe208aaa96edf142730f1d)"
	.section	".note.GNU-stack","",@progbits
	.addrsig
	.addrsig_sym __hip_cuid_f9f3cc9c4caaf6a8
	.amdgpu_metadata
---
amdhsa.kernels:
  - .agpr_count:     0
    .args:
      - .actual_access:  read_only
        .address_space:  global
        .offset:         0
        .size:           8
        .value_kind:     global_buffer
      - .address_space:  global
        .offset:         8
        .size:           8
        .value_kind:     global_buffer
      - .actual_access:  read_only
        .address_space:  global
        .offset:         16
        .size:           8
        .value_kind:     global_buffer
      - .actual_access:  read_only
        .address_space:  global
        .offset:         24
        .size:           8
        .value_kind:     global_buffer
      - .offset:         32
        .size:           8
        .value_kind:     by_value
      - .actual_access:  read_only
        .address_space:  global
        .offset:         40
        .size:           8
        .value_kind:     global_buffer
      - .actual_access:  read_only
        .address_space:  global
        .offset:         48
        .size:           8
        .value_kind:     global_buffer
      - .offset:         56
        .size:           4
        .value_kind:     by_value
      - .actual_access:  read_only
        .address_space:  global
        .offset:         64
        .size:           8
        .value_kind:     global_buffer
      - .actual_access:  read_only
        .address_space:  global
        .offset:         72
        .size:           8
        .value_kind:     global_buffer
      - .address_space:  global
        .offset:         80
        .size:           8
        .value_kind:     global_buffer
    .group_segment_fixed_size: 0
    .kernarg_segment_align: 8
    .kernarg_segment_size: 88
    .language:       OpenCL C
    .language_version:
      - 2
      - 0
    .max_flat_workgroup_size: 160
    .name:           fft_rtc_back_len125_factors_5_5_5_wgs_160_tpt_5_dim3_sp_ip_CI_sbcc_twdbase8_2step_dirReg_intrinsicReadWrite
    .private_segment_fixed_size: 0
    .sgpr_count:     32
    .sgpr_spill_count: 0
    .symbol:         fft_rtc_back_len125_factors_5_5_5_wgs_160_tpt_5_dim3_sp_ip_CI_sbcc_twdbase8_2step_dirReg_intrinsicReadWrite.kd
    .uniform_work_group_size: 1
    .uses_dynamic_stack: false
    .vgpr_count:     125
    .vgpr_spill_count: 0
    .wavefront_size: 64
amdhsa.target:   amdgcn-amd-amdhsa--gfx950
amdhsa.version:
  - 1
  - 2
...

	.end_amdgpu_metadata
